;; amdgpu-corpus repo=ROCm/rocFFT kind=compiled arch=gfx1030 opt=O3
	.text
	.amdgcn_target "amdgcn-amd-amdhsa--gfx1030"
	.amdhsa_code_object_version 6
	.protected	fft_rtc_back_len2016_factors_2_2_2_2_2_3_3_7_wgs_224_tpt_112_halfLds_dp_ip_CI_unitstride_sbrr_C2R_dirReg ; -- Begin function fft_rtc_back_len2016_factors_2_2_2_2_2_3_3_7_wgs_224_tpt_112_halfLds_dp_ip_CI_unitstride_sbrr_C2R_dirReg
	.globl	fft_rtc_back_len2016_factors_2_2_2_2_2_3_3_7_wgs_224_tpt_112_halfLds_dp_ip_CI_unitstride_sbrr_C2R_dirReg
	.p2align	8
	.type	fft_rtc_back_len2016_factors_2_2_2_2_2_3_3_7_wgs_224_tpt_112_halfLds_dp_ip_CI_unitstride_sbrr_C2R_dirReg,@function
fft_rtc_back_len2016_factors_2_2_2_2_2_3_3_7_wgs_224_tpt_112_halfLds_dp_ip_CI_unitstride_sbrr_C2R_dirReg: ; @fft_rtc_back_len2016_factors_2_2_2_2_2_3_3_7_wgs_224_tpt_112_halfLds_dp_ip_CI_unitstride_sbrr_C2R_dirReg
; %bb.0:
	s_clause 0x2
	s_load_dwordx4 s[8:11], s[4:5], 0x0
	s_load_dwordx2 s[2:3], s[4:5], 0x50
	s_load_dwordx2 s[12:13], s[4:5], 0x18
	v_mul_u32_u24_e32 v1, 0x24a, v0
	v_mov_b32_e32 v3, 0
	v_lshrrev_b32_e32 v9, 16, v1
	v_mov_b32_e32 v1, 0
	v_mov_b32_e32 v6, v3
	v_mov_b32_e32 v2, 0
	v_lshl_add_u32 v5, s6, 1, v9
	s_waitcnt lgkmcnt(0)
	v_cmp_lt_u64_e64 s0, s[10:11], 2
	s_and_b32 vcc_lo, exec_lo, s0
	s_cbranch_vccnz .LBB0_8
; %bb.1:
	s_load_dwordx2 s[0:1], s[4:5], 0x10
	v_mov_b32_e32 v1, 0
	s_add_u32 s6, s12, 8
	v_mov_b32_e32 v2, 0
	s_addc_u32 s7, s13, 0
	s_mov_b64 s[16:17], 1
	s_waitcnt lgkmcnt(0)
	s_add_u32 s14, s0, 8
	s_addc_u32 s15, s1, 0
.LBB0_2:                                ; =>This Inner Loop Header: Depth=1
	s_load_dwordx2 s[18:19], s[14:15], 0x0
                                        ; implicit-def: $vgpr7_vgpr8
	s_mov_b32 s0, exec_lo
	s_waitcnt lgkmcnt(0)
	v_or_b32_e32 v4, s19, v6
	v_cmpx_ne_u64_e32 0, v[3:4]
	s_xor_b32 s1, exec_lo, s0
	s_cbranch_execz .LBB0_4
; %bb.3:                                ;   in Loop: Header=BB0_2 Depth=1
	v_cvt_f32_u32_e32 v4, s18
	v_cvt_f32_u32_e32 v7, s19
	s_sub_u32 s0, 0, s18
	s_subb_u32 s20, 0, s19
	v_fmac_f32_e32 v4, 0x4f800000, v7
	v_rcp_f32_e32 v4, v4
	v_mul_f32_e32 v4, 0x5f7ffffc, v4
	v_mul_f32_e32 v7, 0x2f800000, v4
	v_trunc_f32_e32 v7, v7
	v_fmac_f32_e32 v4, 0xcf800000, v7
	v_cvt_u32_f32_e32 v7, v7
	v_cvt_u32_f32_e32 v4, v4
	v_mul_lo_u32 v8, s0, v7
	v_mul_hi_u32 v10, s0, v4
	v_mul_lo_u32 v11, s20, v4
	v_add_nc_u32_e32 v8, v10, v8
	v_mul_lo_u32 v10, s0, v4
	v_add_nc_u32_e32 v8, v8, v11
	v_mul_hi_u32 v11, v4, v10
	v_mul_lo_u32 v12, v4, v8
	v_mul_hi_u32 v13, v4, v8
	v_mul_hi_u32 v14, v7, v10
	v_mul_lo_u32 v10, v7, v10
	v_mul_hi_u32 v15, v7, v8
	v_mul_lo_u32 v8, v7, v8
	v_add_co_u32 v11, vcc_lo, v11, v12
	v_add_co_ci_u32_e32 v12, vcc_lo, 0, v13, vcc_lo
	v_add_co_u32 v10, vcc_lo, v11, v10
	v_add_co_ci_u32_e32 v10, vcc_lo, v12, v14, vcc_lo
	v_add_co_ci_u32_e32 v11, vcc_lo, 0, v15, vcc_lo
	v_add_co_u32 v8, vcc_lo, v10, v8
	v_add_co_ci_u32_e32 v10, vcc_lo, 0, v11, vcc_lo
	v_add_co_u32 v4, vcc_lo, v4, v8
	v_add_co_ci_u32_e32 v7, vcc_lo, v7, v10, vcc_lo
	v_mul_hi_u32 v8, s0, v4
	v_mul_lo_u32 v11, s20, v4
	v_mul_lo_u32 v10, s0, v7
	v_add_nc_u32_e32 v8, v8, v10
	v_mul_lo_u32 v10, s0, v4
	v_add_nc_u32_e32 v8, v8, v11
	v_mul_hi_u32 v11, v4, v10
	v_mul_lo_u32 v12, v4, v8
	v_mul_hi_u32 v13, v4, v8
	v_mul_hi_u32 v14, v7, v10
	v_mul_lo_u32 v10, v7, v10
	v_mul_hi_u32 v15, v7, v8
	v_mul_lo_u32 v8, v7, v8
	v_add_co_u32 v11, vcc_lo, v11, v12
	v_add_co_ci_u32_e32 v12, vcc_lo, 0, v13, vcc_lo
	v_add_co_u32 v10, vcc_lo, v11, v10
	v_add_co_ci_u32_e32 v10, vcc_lo, v12, v14, vcc_lo
	v_add_co_ci_u32_e32 v11, vcc_lo, 0, v15, vcc_lo
	v_add_co_u32 v8, vcc_lo, v10, v8
	v_add_co_ci_u32_e32 v10, vcc_lo, 0, v11, vcc_lo
	v_add_co_u32 v4, vcc_lo, v4, v8
	v_add_co_ci_u32_e32 v12, vcc_lo, v7, v10, vcc_lo
	v_mul_hi_u32 v14, v5, v4
	v_mad_u64_u32 v[10:11], null, v6, v4, 0
	v_mad_u64_u32 v[7:8], null, v5, v12, 0
	;; [unrolled: 1-line block ×3, first 2 shown]
	v_add_co_u32 v4, vcc_lo, v14, v7
	v_add_co_ci_u32_e32 v7, vcc_lo, 0, v8, vcc_lo
	v_add_co_u32 v4, vcc_lo, v4, v10
	v_add_co_ci_u32_e32 v4, vcc_lo, v7, v11, vcc_lo
	v_add_co_ci_u32_e32 v7, vcc_lo, 0, v13, vcc_lo
	v_add_co_u32 v4, vcc_lo, v4, v12
	v_add_co_ci_u32_e32 v10, vcc_lo, 0, v7, vcc_lo
	v_mul_lo_u32 v11, s19, v4
	v_mad_u64_u32 v[7:8], null, s18, v4, 0
	v_mul_lo_u32 v12, s18, v10
	v_sub_co_u32 v7, vcc_lo, v5, v7
	v_add3_u32 v8, v8, v12, v11
	v_sub_nc_u32_e32 v11, v6, v8
	v_subrev_co_ci_u32_e64 v11, s0, s19, v11, vcc_lo
	v_add_co_u32 v12, s0, v4, 2
	v_add_co_ci_u32_e64 v13, s0, 0, v10, s0
	v_sub_co_u32 v14, s0, v7, s18
	v_sub_co_ci_u32_e32 v8, vcc_lo, v6, v8, vcc_lo
	v_subrev_co_ci_u32_e64 v11, s0, 0, v11, s0
	v_cmp_le_u32_e32 vcc_lo, s18, v14
	v_cmp_eq_u32_e64 s0, s19, v8
	v_cndmask_b32_e64 v14, 0, -1, vcc_lo
	v_cmp_le_u32_e32 vcc_lo, s19, v11
	v_cndmask_b32_e64 v15, 0, -1, vcc_lo
	v_cmp_le_u32_e32 vcc_lo, s18, v7
	;; [unrolled: 2-line block ×3, first 2 shown]
	v_cndmask_b32_e64 v16, 0, -1, vcc_lo
	v_cmp_eq_u32_e32 vcc_lo, s19, v11
	v_cndmask_b32_e64 v7, v16, v7, s0
	v_cndmask_b32_e32 v11, v15, v14, vcc_lo
	v_add_co_u32 v14, vcc_lo, v4, 1
	v_add_co_ci_u32_e32 v15, vcc_lo, 0, v10, vcc_lo
	v_cmp_ne_u32_e32 vcc_lo, 0, v11
	v_cndmask_b32_e32 v8, v15, v13, vcc_lo
	v_cndmask_b32_e32 v11, v14, v12, vcc_lo
	v_cmp_ne_u32_e32 vcc_lo, 0, v7
	v_cndmask_b32_e32 v8, v10, v8, vcc_lo
	v_cndmask_b32_e32 v7, v4, v11, vcc_lo
.LBB0_4:                                ;   in Loop: Header=BB0_2 Depth=1
	s_andn2_saveexec_b32 s0, s1
	s_cbranch_execz .LBB0_6
; %bb.5:                                ;   in Loop: Header=BB0_2 Depth=1
	v_cvt_f32_u32_e32 v4, s18
	s_sub_i32 s1, 0, s18
	v_rcp_iflag_f32_e32 v4, v4
	v_mul_f32_e32 v4, 0x4f7ffffe, v4
	v_cvt_u32_f32_e32 v4, v4
	v_mul_lo_u32 v7, s1, v4
	v_mul_hi_u32 v7, v4, v7
	v_add_nc_u32_e32 v4, v4, v7
	v_mul_hi_u32 v4, v5, v4
	v_mul_lo_u32 v7, v4, s18
	v_add_nc_u32_e32 v8, 1, v4
	v_sub_nc_u32_e32 v7, v5, v7
	v_subrev_nc_u32_e32 v10, s18, v7
	v_cmp_le_u32_e32 vcc_lo, s18, v7
	v_cndmask_b32_e32 v7, v7, v10, vcc_lo
	v_cndmask_b32_e32 v4, v4, v8, vcc_lo
	v_cmp_le_u32_e32 vcc_lo, s18, v7
	v_add_nc_u32_e32 v8, 1, v4
	v_cndmask_b32_e32 v7, v4, v8, vcc_lo
	v_mov_b32_e32 v8, v3
.LBB0_6:                                ;   in Loop: Header=BB0_2 Depth=1
	s_or_b32 exec_lo, exec_lo, s0
	s_load_dwordx2 s[0:1], s[6:7], 0x0
	v_mul_lo_u32 v4, v8, s18
	v_mul_lo_u32 v12, v7, s19
	v_mad_u64_u32 v[10:11], null, v7, s18, 0
	s_add_u32 s16, s16, 1
	s_addc_u32 s17, s17, 0
	s_add_u32 s6, s6, 8
	s_addc_u32 s7, s7, 0
	;; [unrolled: 2-line block ×3, first 2 shown]
	v_add3_u32 v4, v11, v12, v4
	v_sub_co_u32 v5, vcc_lo, v5, v10
	v_sub_co_ci_u32_e32 v4, vcc_lo, v6, v4, vcc_lo
	s_waitcnt lgkmcnt(0)
	v_mul_lo_u32 v6, s1, v5
	v_mul_lo_u32 v4, s0, v4
	v_mad_u64_u32 v[1:2], null, s0, v5, v[1:2]
	v_cmp_ge_u64_e64 s0, s[16:17], s[10:11]
	s_and_b32 vcc_lo, exec_lo, s0
	v_add3_u32 v2, v6, v2, v4
	s_cbranch_vccnz .LBB0_9
; %bb.7:                                ;   in Loop: Header=BB0_2 Depth=1
	v_mov_b32_e32 v5, v7
	v_mov_b32_e32 v6, v8
	s_branch .LBB0_2
.LBB0_8:
	v_mov_b32_e32 v8, v6
	v_mov_b32_e32 v7, v5
.LBB0_9:
	s_lshl_b64 s[0:1], s[10:11], 3
	v_and_b32_e32 v6, 1, v9
	s_add_u32 s0, s12, s0
	s_addc_u32 s1, s13, s1
	v_mul_hi_u32 v3, 0x2492493, v0
	s_load_dwordx2 s[0:1], s[0:1], 0x0
	s_load_dwordx2 s[4:5], s[4:5], 0x20
	v_cmp_eq_u32_e32 vcc_lo, 1, v6
	v_cndmask_b32_e64 v91, 0, 0x7e1, vcc_lo
	v_mul_u32_u24_e32 v3, 0x70, v3
	v_lshlrev_b32_e32 v32, 4, v91
	v_sub_nc_u32_e32 v84, v0, v3
	s_waitcnt lgkmcnt(0)
	v_mul_lo_u32 v4, s0, v8
	v_mul_lo_u32 v5, s1, v7
	v_mad_u64_u32 v[1:2], null, s0, v7, v[1:2]
	v_cmp_gt_u64_e32 vcc_lo, s[4:5], v[7:8]
	v_add3_u32 v2, v5, v2, v4
	v_lshlrev_b64 v[86:87], 4, v[1:2]
	s_and_saveexec_b32 s1, vcc_lo
	s_cbranch_execz .LBB0_13
; %bb.10:
	v_mov_b32_e32 v85, 0
	v_add_co_u32 v0, s0, s2, v86
	v_add_co_ci_u32_e64 v1, s0, s3, v87, s0
	v_lshlrev_b64 v[2:3], 4, v[84:85]
	v_or_b32_e32 v21, 0x380, v84
	v_mov_b32_e32 v22, v85
	v_or_b32_e32 v23, 0x700, v84
	v_mov_b32_e32 v24, v85
	s_mov_b32 s4, exec_lo
	v_add_co_u32 v19, s0, v0, v2
	v_add_co_ci_u32_e64 v20, s0, v1, v3, s0
	v_lshlrev_b64 v[21:22], 4, v[21:22]
	v_add_co_u32 v11, s0, 0x800, v19
	v_add_co_ci_u32_e64 v12, s0, 0, v20, s0
	v_add_co_u32 v15, s0, 0x1000, v19
	v_add_co_ci_u32_e64 v16, s0, 0, v20, s0
	v_add_co_u32 v25, s0, 0x1800, v19
	v_add_co_ci_u32_e64 v26, s0, 0, v20, s0
	v_add_co_u32 v27, s0, 0x2000, v19
	v_add_co_ci_u32_e64 v28, s0, 0, v20, s0
	v_add_co_u32 v29, s0, 0x2800, v19
	v_add_co_ci_u32_e64 v30, s0, 0, v20, s0
	v_add_co_u32 v33, s0, 0x3000, v19
	v_add_co_ci_u32_e64 v34, s0, 0, v20, s0
	v_add_co_u32 v37, s0, v0, v21
	v_add_co_ci_u32_e64 v38, s0, v1, v22, s0
	v_add_co_u32 v41, s0, 0x3800, v19
	v_add_co_ci_u32_e64 v42, s0, 0, v20, s0
	v_add_co_u32 v45, s0, 0x4000, v19
	v_add_co_ci_u32_e64 v46, s0, 0, v20, s0
	v_add_co_u32 v49, s0, 0x4800, v19
	v_add_co_ci_u32_e64 v50, s0, 0, v20, s0
	v_add_co_u32 v53, s0, 0x5000, v19
	v_add_co_ci_u32_e64 v54, s0, 0, v20, s0
	v_add_co_u32 v57, s0, 0x5800, v19
	v_add_co_ci_u32_e64 v58, s0, 0, v20, s0
	v_lshlrev_b64 v[23:24], 4, v[23:24]
	v_add_co_u32 v61, s0, 0x6000, v19
	v_add_co_ci_u32_e64 v62, s0, 0, v20, s0
	v_add_co_u32 v65, s0, 0x6800, v19
	v_add_co_ci_u32_e64 v66, s0, 0, v20, s0
	;; [unrolled: 2-line block ×4, first 2 shown]
	s_clause 0x11
	global_load_dwordx4 v[3:6], v[19:20], off
	global_load_dwordx4 v[7:10], v[19:20], off offset:1792
	global_load_dwordx4 v[11:14], v[11:12], off offset:1536
	global_load_dwordx4 v[15:18], v[15:16], off offset:1280
	global_load_dwordx4 v[19:22], v[25:26], off offset:1024
	global_load_dwordx4 v[23:26], v[27:28], off offset:768
	global_load_dwordx4 v[27:30], v[29:30], off offset:512
	global_load_dwordx4 v[33:36], v[33:34], off offset:256
	global_load_dwordx4 v[37:40], v[37:38], off
	global_load_dwordx4 v[41:44], v[41:42], off offset:1792
	global_load_dwordx4 v[45:48], v[45:46], off offset:1536
	;; [unrolled: 1-line block ×7, first 2 shown]
	global_load_dwordx4 v[69:72], v[69:70], off
	global_load_dwordx4 v[73:76], v[73:74], off offset:1792
	v_lshlrev_b32_e32 v2, 4, v84
	v_add3_u32 v2, 0, v32, v2
	s_waitcnt vmcnt(17)
	ds_write_b128 v2, v[3:6]
	s_waitcnt vmcnt(16)
	ds_write_b128 v2, v[7:10] offset:1792
	s_waitcnt vmcnt(15)
	ds_write_b128 v2, v[11:14] offset:3584
	;; [unrolled: 2-line block ×17, first 2 shown]
	v_cmpx_eq_u32_e32 0x6f, v84
	s_cbranch_execz .LBB0_12
; %bb.11:
	v_add_co_u32 v0, s0, 0x7800, v0
	v_add_co_ci_u32_e64 v1, s0, 0, v1, s0
	v_mov_b32_e32 v84, 0x6f
	global_load_dwordx4 v[3:6], v[0:1], off offset:1536
	s_waitcnt vmcnt(0)
	ds_write_b128 v2, v[3:6] offset:30480
.LBB0_12:
	s_or_b32 exec_lo, exec_lo, s4
.LBB0_13:
	s_or_b32 exec_lo, exec_lo, s1
	v_lshl_add_u32 v90, v91, 4, 0
	v_lshlrev_b32_e32 v0, 4, v84
	s_waitcnt lgkmcnt(0)
	s_barrier
	buffer_gl0_inv
	s_add_u32 s1, s8, 0x7de0
	v_add_nc_u32_e32 v33, v90, v0
	v_sub_nc_u32_e32 v10, v90, v0
	s_addc_u32 s4, s9, 0
	s_mov_b32 s5, exec_lo
	ds_read_b64 v[6:7], v33
	ds_read_b64 v[8:9], v10 offset:32256
                                        ; implicit-def: $vgpr4_vgpr5
	s_waitcnt lgkmcnt(0)
	v_add_f64 v[0:1], v[6:7], v[8:9]
	v_add_f64 v[2:3], v[6:7], -v[8:9]
	v_cmpx_ne_u32_e32 0, v84
	s_xor_b32 s5, exec_lo, s5
	s_cbranch_execz .LBB0_15
; %bb.14:
	v_mov_b32_e32 v85, 0
	v_add_f64 v[13:14], v[6:7], v[8:9]
	v_add_f64 v[15:16], v[6:7], -v[8:9]
	v_lshlrev_b64 v[0:1], 4, v[84:85]
	v_add_co_u32 v0, s0, s1, v0
	v_add_co_ci_u32_e64 v1, s0, s4, v1, s0
	global_load_dwordx4 v[2:5], v[0:1], off
	ds_read_b64 v[0:1], v10 offset:32264
	ds_read_b64 v[11:12], v33 offset:8
	s_waitcnt lgkmcnt(0)
	v_add_f64 v[6:7], v[0:1], v[11:12]
	v_add_f64 v[0:1], v[11:12], -v[0:1]
	s_waitcnt vmcnt(0)
	v_fma_f64 v[8:9], v[15:16], v[4:5], v[13:14]
	v_fma_f64 v[11:12], -v[15:16], v[4:5], v[13:14]
	v_fma_f64 v[13:14], v[6:7], v[4:5], -v[0:1]
	v_fma_f64 v[4:5], v[6:7], v[4:5], v[0:1]
	v_fma_f64 v[0:1], -v[6:7], v[2:3], v[8:9]
	v_fma_f64 v[6:7], v[6:7], v[2:3], v[11:12]
	v_fma_f64 v[8:9], v[15:16], v[2:3], v[13:14]
	;; [unrolled: 1-line block ×3, first 2 shown]
	v_mov_b32_e32 v4, v84
	v_mov_b32_e32 v5, v85
	ds_write_b128 v10, v[6:9] offset:32256
.LBB0_15:
	s_andn2_saveexec_b32 s0, s5
	s_cbranch_execz .LBB0_17
; %bb.16:
	ds_read_b128 v[4:7], v90 offset:16128
	s_waitcnt lgkmcnt(0)
	v_add_f64 v[11:12], v[4:5], v[4:5]
	v_mul_f64 v[13:14], v[6:7], -2.0
	v_mov_b32_e32 v4, 0
	v_mov_b32_e32 v5, 0
	ds_write_b128 v90, v[11:14] offset:16128
.LBB0_17:
	s_or_b32 exec_lo, exec_lo, s0
	v_lshlrev_b64 v[4:5], 4, v[4:5]
	ds_write_b128 v33, v[0:3]
	v_or_b32_e32 v88, 0x380, v84
	v_mov_b32_e32 v89, 0
	v_lshl_add_u32 v85, v84, 4, 0
	v_add_nc_u32_e32 v93, 0xe0, v84
	v_add_co_u32 v27, s0, s1, v4
	v_add_co_ci_u32_e64 v28, s0, s4, v5, s0
	v_add_nc_u32_e32 v92, v85, v32
	v_add_co_u32 v8, s0, 0x800, v27
	global_load_dwordx4 v[4:7], v[27:28], off offset:1792
	v_add_co_ci_u32_e64 v9, s0, 0, v28, s0
	v_add_nc_u32_e32 v36, 0x1c0, v84
	v_add_nc_u32_e32 v37, 0x230, v84
	v_lshlrev_b32_e32 v100, 5, v88
	global_load_dwordx4 v[11:14], v[8:9], off offset:1536
	v_add_co_u32 v8, s0, 0x1000, v27
	v_add_co_ci_u32_e64 v9, s0, 0, v28, s0
	v_lshlrev_b32_e32 v82, 5, v36
	v_lshlrev_b32_e32 v83, 5, v37
	s_mov_b32 s7, 0x3febb67a
	global_load_dwordx4 v[15:18], v[8:9], off offset:1280
	v_add_co_u32 v8, s0, 0x1800, v27
	v_add_co_ci_u32_e64 v9, s0, 0, v28, s0
	ds_read_b128 v[0:3], v33 offset:1792
	ds_read_b128 v[19:22], v10 offset:30464
	global_load_dwordx4 v[23:26], v[8:9], off offset:1024
	s_waitcnt lgkmcnt(0)
	v_add_f64 v[8:9], v[0:1], v[19:20]
	v_add_f64 v[29:30], v[21:22], v[2:3]
	v_add_f64 v[19:20], v[0:1], -v[19:20]
	v_add_f64 v[0:1], v[2:3], -v[21:22]
	s_waitcnt vmcnt(3)
	v_fma_f64 v[2:3], v[19:20], v[6:7], v[8:9]
	v_fma_f64 v[21:22], v[29:30], v[6:7], v[0:1]
	v_fma_f64 v[8:9], -v[19:20], v[6:7], v[8:9]
	v_fma_f64 v[34:35], v[29:30], v[6:7], -v[0:1]
	v_fma_f64 v[0:1], -v[29:30], v[4:5], v[2:3]
	v_fma_f64 v[2:3], v[19:20], v[4:5], v[21:22]
	v_fma_f64 v[6:7], v[29:30], v[4:5], v[8:9]
	v_fma_f64 v[8:9], v[19:20], v[4:5], v[34:35]
	v_add_co_u32 v19, s0, 0x2000, v27
	v_add_co_ci_u32_e64 v20, s0, 0, v28, s0
	ds_write_b128 v33, v[0:3] offset:1792
	ds_write_b128 v10, v[6:9] offset:30464
	ds_read_b128 v[0:3], v33 offset:3584
	ds_read_b128 v[4:7], v10 offset:28672
	global_load_dwordx4 v[19:22], v[19:20], off offset:768
	s_waitcnt lgkmcnt(0)
	v_add_f64 v[8:9], v[0:1], v[4:5]
	v_add_f64 v[29:30], v[6:7], v[2:3]
	v_add_f64 v[34:35], v[0:1], -v[4:5]
	v_add_f64 v[0:1], v[2:3], -v[6:7]
	s_waitcnt vmcnt(3)
	v_fma_f64 v[2:3], v[34:35], v[13:14], v[8:9]
	v_fma_f64 v[4:5], v[29:30], v[13:14], v[0:1]
	v_fma_f64 v[6:7], -v[34:35], v[13:14], v[8:9]
	v_fma_f64 v[8:9], v[29:30], v[13:14], -v[0:1]
	v_fma_f64 v[0:1], -v[29:30], v[11:12], v[2:3]
	v_fma_f64 v[2:3], v[34:35], v[11:12], v[4:5]
	v_fma_f64 v[4:5], v[29:30], v[11:12], v[6:7]
	v_fma_f64 v[6:7], v[34:35], v[11:12], v[8:9]
	v_add_co_u32 v8, s0, 0x2800, v27
	v_add_co_ci_u32_e64 v9, s0, 0, v28, s0
	ds_write_b128 v33, v[0:3] offset:3584
	ds_write_b128 v10, v[4:7] offset:28672
	ds_read_b128 v[0:3], v33 offset:5376
	ds_read_b128 v[4:7], v10 offset:26880
	global_load_dwordx4 v[11:14], v[8:9], off offset:512
	s_waitcnt lgkmcnt(0)
	v_add_f64 v[8:9], v[0:1], v[4:5]
	v_add_f64 v[29:30], v[6:7], v[2:3]
	v_add_f64 v[34:35], v[0:1], -v[4:5]
	v_add_f64 v[0:1], v[2:3], -v[6:7]
	s_waitcnt vmcnt(3)
	v_fma_f64 v[2:3], v[34:35], v[17:18], v[8:9]
	v_fma_f64 v[4:5], v[29:30], v[17:18], v[0:1]
	v_fma_f64 v[6:7], -v[34:35], v[17:18], v[8:9]
	v_fma_f64 v[8:9], v[29:30], v[17:18], -v[0:1]
	v_fma_f64 v[0:1], -v[29:30], v[15:16], v[2:3]
	v_fma_f64 v[2:3], v[34:35], v[15:16], v[4:5]
	v_fma_f64 v[4:5], v[29:30], v[15:16], v[6:7]
	;; [unrolled: 1-line block ×3, first 2 shown]
	v_add_co_u32 v8, s0, 0x3000, v27
	v_add_co_ci_u32_e64 v9, s0, 0, v28, s0
	v_add_nc_u32_e32 v35, 0x70, v84
	v_add_nc_u32_e32 v34, 0x150, v84
	ds_write_b128 v33, v[0:3] offset:5376
	ds_write_b128 v10, v[4:7] offset:26880
	ds_read_b128 v[0:3], v33 offset:7168
	ds_read_b128 v[4:7], v10 offset:25088
	global_load_dwordx4 v[15:18], v[8:9], off offset:256
	v_lshlrev_b32_e32 v31, 5, v34
	s_waitcnt lgkmcnt(0)
	v_add_f64 v[8:9], v[0:1], v[4:5]
	v_add_f64 v[27:28], v[6:7], v[2:3]
	v_add_f64 v[29:30], v[0:1], -v[4:5]
	v_add_f64 v[0:1], v[2:3], -v[6:7]
	s_waitcnt vmcnt(3)
	v_fma_f64 v[2:3], v[29:30], v[25:26], v[8:9]
	v_fma_f64 v[4:5], v[27:28], v[25:26], v[0:1]
	v_fma_f64 v[6:7], -v[29:30], v[25:26], v[8:9]
	v_fma_f64 v[8:9], v[27:28], v[25:26], -v[0:1]
	v_fma_f64 v[0:1], -v[27:28], v[23:24], v[2:3]
	v_fma_f64 v[2:3], v[29:30], v[23:24], v[4:5]
	v_fma_f64 v[4:5], v[27:28], v[23:24], v[6:7]
	;; [unrolled: 1-line block ×3, first 2 shown]
	v_lshlrev_b64 v[8:9], 4, v[88:89]
	ds_write_b128 v33, v[0:3] offset:7168
	ds_write_b128 v10, v[4:7] offset:25088
	v_add_co_u32 v8, s0, s1, v8
	v_add_co_ci_u32_e64 v9, s0, s4, v9, s0
	ds_read_b128 v[0:3], v33 offset:8960
	ds_read_b128 v[4:7], v10 offset:23296
	v_cmp_gt_u32_e64 s0, 0x60, v84
	s_mov_b32 s4, 0xe8584caa
	global_load_dwordx4 v[23:26], v[8:9], off
	s_mov_b32 s5, 0xbfebb67a
	s_mov_b32 s6, s4
	s_waitcnt lgkmcnt(0)
	v_add_f64 v[8:9], v[0:1], v[4:5]
	v_add_f64 v[27:28], v[6:7], v[2:3]
	v_add_f64 v[29:30], v[0:1], -v[4:5]
	v_add_f64 v[0:1], v[2:3], -v[6:7]
	s_waitcnt vmcnt(3)
	v_fma_f64 v[2:3], v[29:30], v[21:22], v[8:9]
	v_fma_f64 v[4:5], v[27:28], v[21:22], v[0:1]
	v_fma_f64 v[6:7], -v[29:30], v[21:22], v[8:9]
	v_fma_f64 v[8:9], v[27:28], v[21:22], -v[0:1]
	v_fma_f64 v[0:1], -v[27:28], v[19:20], v[2:3]
	v_fma_f64 v[2:3], v[29:30], v[19:20], v[4:5]
	v_fma_f64 v[4:5], v[27:28], v[19:20], v[6:7]
	v_fma_f64 v[6:7], v[29:30], v[19:20], v[8:9]
	ds_write_b128 v33, v[0:3] offset:8960
	ds_write_b128 v10, v[4:7] offset:23296
	ds_read_b128 v[0:3], v33 offset:10752
	ds_read_b128 v[4:7], v10 offset:21504
	s_waitcnt lgkmcnt(0)
	v_add_f64 v[8:9], v[0:1], v[4:5]
	v_add_f64 v[19:20], v[6:7], v[2:3]
	v_add_f64 v[21:22], v[0:1], -v[4:5]
	v_add_f64 v[0:1], v[2:3], -v[6:7]
	s_waitcnt vmcnt(2)
	v_fma_f64 v[2:3], v[21:22], v[13:14], v[8:9]
	v_fma_f64 v[4:5], v[19:20], v[13:14], v[0:1]
	v_fma_f64 v[6:7], -v[21:22], v[13:14], v[8:9]
	v_fma_f64 v[8:9], v[19:20], v[13:14], -v[0:1]
	v_fma_f64 v[0:1], -v[19:20], v[11:12], v[2:3]
	v_fma_f64 v[2:3], v[21:22], v[11:12], v[4:5]
	v_fma_f64 v[4:5], v[19:20], v[11:12], v[6:7]
	v_fma_f64 v[6:7], v[21:22], v[11:12], v[8:9]
	ds_write_b128 v33, v[0:3] offset:10752
	ds_write_b128 v10, v[4:7] offset:21504
	ds_read_b128 v[0:3], v33 offset:12544
	ds_read_b128 v[4:7], v10 offset:19712
	;; [unrolled: 18-line block ×3, first 2 shown]
	s_waitcnt lgkmcnt(0)
	v_add_f64 v[8:9], v[0:1], v[4:5]
	v_add_f64 v[11:12], v[6:7], v[2:3]
	v_add_f64 v[13:14], v[0:1], -v[4:5]
	v_add_f64 v[0:1], v[2:3], -v[6:7]
	s_waitcnt vmcnt(0)
	v_fma_f64 v[2:3], v[13:14], v[25:26], v[8:9]
	v_fma_f64 v[4:5], v[11:12], v[25:26], v[0:1]
	v_fma_f64 v[6:7], -v[13:14], v[25:26], v[8:9]
	v_fma_f64 v[8:9], v[11:12], v[25:26], -v[0:1]
	v_fma_f64 v[0:1], -v[11:12], v[23:24], v[2:3]
	v_fma_f64 v[2:3], v[13:14], v[23:24], v[4:5]
	v_fma_f64 v[4:5], v[11:12], v[23:24], v[6:7]
	;; [unrolled: 1-line block ×3, first 2 shown]
	ds_write_b128 v33, v[0:3] offset:14336
	ds_write_b128 v10, v[4:7] offset:17920
	s_waitcnt lgkmcnt(0)
	s_barrier
	buffer_gl0_inv
	s_barrier
	buffer_gl0_inv
	ds_read_b128 v[0:3], v92 offset:16128
	ds_read_b128 v[4:7], v33
	ds_read_b128 v[15:18], v92 offset:1792
	ds_read_b128 v[19:22], v92 offset:17920
	;; [unrolled: 1-line block ×16, first 2 shown]
	v_lshlrev_b32_e32 v8, 5, v84
	v_add_nc_u32_e32 v9, 0x2a0, v84
	v_add_nc_u32_e32 v11, 0x310, v84
	s_waitcnt lgkmcnt(16)
	v_add_f64 v[0:1], v[4:5], -v[0:1]
	v_add_f64 v[2:3], v[6:7], -v[2:3]
	s_waitcnt lgkmcnt(14)
	v_add_f64 v[19:20], v[15:16], -v[19:20]
	v_add_f64 v[21:22], v[17:18], -v[21:22]
	;; [unrolled: 3-line block ×9, first 2 shown]
	v_and_b32_e32 v14, 1, v84
	v_lshlrev_b32_e32 v12, 5, v35
	v_lshlrev_b32_e32 v13, 5, v93
	v_add3_u32 v8, 0, v8, v32
	v_fma_f64 v[4:5], v[4:5], 2.0, -v[0:1]
	v_fma_f64 v[6:7], v[6:7], 2.0, -v[2:3]
	;; [unrolled: 1-line block ×16, first 2 shown]
	v_lshlrev_b32_e32 v98, 5, v9
	v_lshlrev_b32_e32 v99, 5, v11
	;; [unrolled: 1-line block ×3, first 2 shown]
	v_fma_f64 v[78:79], v[78:79], 2.0, -v[94:95]
	v_fma_f64 v[80:81], v[80:81], 2.0, -v[96:97]
	v_add3_u32 v10, 0, v12, v32
	v_add3_u32 v12, 0, v13, v32
	;; [unrolled: 1-line block ×8, first 2 shown]
	s_barrier
	buffer_gl0_inv
	ds_write_b128 v8, v[0:3] offset:16
	ds_write_b128 v10, v[19:22] offset:16
	;; [unrolled: 1-line block ×9, first 2 shown]
	ds_write_b128 v8, v[4:7]
	ds_write_b128 v10, v[15:18]
	;; [unrolled: 1-line block ×9, first 2 shown]
	s_waitcnt lgkmcnt(0)
	s_barrier
	buffer_gl0_inv
	global_load_dwordx4 v[0:3], v101, s[8:9]
	v_lshlrev_b32_e32 v12, 1, v84
	v_lshlrev_b32_e32 v4, 1, v35
	;; [unrolled: 1-line block ×5, first 2 shown]
	v_and_or_b32 v15, 0xfc, v12, v14
	v_lshlrev_b32_e32 v8, 1, v37
	v_lshlrev_b32_e32 v9, 1, v9
	;; [unrolled: 1-line block ×5, first 2 shown]
	v_and_or_b32 v18, 0x1fc, v4, v14
	v_and_or_b32 v22, 0x3fc, v5, v14
	;; [unrolled: 1-line block ×8, first 2 shown]
	v_add3_u32 v138, 0, v15, v32
	ds_read_b128 v[14:17], v92 offset:16128
	v_lshlrev_b32_e32 v139, 4, v18
	ds_read_b128 v[18:21], v92 offset:17920
	v_lshlrev_b32_e32 v140, 4, v22
	;; [unrolled: 2-line block ×3, first 2 shown]
	ds_read_b128 v[26:29], v92 offset:21504
	ds_read_b128 v[38:41], v92 offset:23296
	;; [unrolled: 1-line block ×3, first 2 shown]
	v_lshlrev_b32_e32 v144, 4, v46
	ds_read_b128 v[46:49], v92 offset:26880
	ds_read_b128 v[50:53], v92 offset:14336
	;; [unrolled: 1-line block ×4, first 2 shown]
	ds_read_b128 v[62:65], v33
	ds_read_b128 v[66:69], v92 offset:1792
	ds_read_b128 v[70:73], v92 offset:3584
	;; [unrolled: 1-line block ×3, first 2 shown]
	v_lshlrev_b32_e32 v142, 4, v30
	v_lshlrev_b32_e32 v143, 4, v31
	ds_read_b128 v[78:81], v92 offset:7168
	ds_read_b128 v[94:97], v92 offset:8960
	;; [unrolled: 1-line block ×4, first 2 shown]
	v_and_b32_e32 v13, 3, v84
	s_waitcnt vmcnt(0) lgkmcnt(0)
	s_barrier
	buffer_gl0_inv
	v_lshlrev_b32_e32 v88, 4, v13
	v_mul_f64 v[30:31], v[16:17], v[2:3]
	v_mul_f64 v[82:83], v[14:15], v[2:3]
	;; [unrolled: 1-line block ×18, first 2 shown]
	v_fma_f64 v[14:15], v[14:15], v[0:1], v[30:31]
	v_fma_f64 v[16:17], v[16:17], v[0:1], -v[82:83]
	v_fma_f64 v[18:19], v[18:19], v[0:1], v[106:107]
	v_fma_f64 v[20:21], v[20:21], v[0:1], -v[108:109]
	;; [unrolled: 2-line block ×9, first 2 shown]
	v_lshlrev_b32_e32 v82, 4, v136
	v_lshlrev_b32_e32 v83, 4, v137
	v_add3_u32 v106, 0, v139, v32
	v_add3_u32 v107, 0, v140, v32
	v_add_f64 v[0:1], v[62:63], -v[14:15]
	v_add_f64 v[2:3], v[64:65], -v[16:17]
	;; [unrolled: 1-line block ×18, first 2 shown]
	v_add3_u32 v30, 0, v141, v32
	v_add3_u32 v31, 0, v142, v32
	;; [unrolled: 1-line block ×4, first 2 shown]
	v_fma_f64 v[58:59], v[62:63], 2.0, -v[0:1]
	v_fma_f64 v[60:61], v[64:65], 2.0, -v[2:3]
	;; [unrolled: 1-line block ×18, first 2 shown]
	v_add3_u32 v82, 0, v82, v32
	v_add3_u32 v83, 0, v83, v32
	ds_write_b128 v138, v[0:3] offset:32
	ds_write_b128 v138, v[58:61]
	ds_write_b128 v106, v[62:65]
	ds_write_b128 v106, v[14:17] offset:32
	ds_write_b128 v107, v[66:69]
	ds_write_b128 v107, v[18:21] offset:32
	;; [unrolled: 2-line block ×8, first 2 shown]
	s_waitcnt lgkmcnt(0)
	s_barrier
	buffer_gl0_inv
	global_load_dwordx4 v[0:3], v88, s[8:9] offset:32
	v_and_or_b32 v15, 0xf8, v12, v13
	v_and_or_b32 v19, 0x1f8, v4, v13
	;; [unrolled: 1-line block ×5, first 2 shown]
	v_lshlrev_b32_e32 v15, 4, v15
	v_lshlrev_b32_e32 v139, 4, v19
	ds_read_b128 v[19:22], v92 offset:17920
	v_lshlrev_b32_e32 v140, 4, v23
	ds_read_b128 v[23:26], v92 offset:19712
	v_add3_u32 v138, 0, v15, v32
	ds_read_b128 v[15:18], v92 offset:16128
	v_and_or_b32 v42, 0x5f8, v8, v13
	v_lshlrev_b32_e32 v141, 4, v27
	ds_read_b128 v[27:30], v92 offset:21504
	v_lshlrev_b32_e32 v142, 4, v38
	ds_read_b128 v[38:41], v92 offset:23296
	;; [unrolled: 2-line block ×3, first 2 shown]
	v_and_or_b32 v46, 0x7f8, v9, v13
	v_and_b32_e32 v14, 7, v84
	v_and_or_b32 v88, 0x7f8, v10, v13
	v_and_or_b32 v13, 0x7f8, v11, v13
	v_lshlrev_b32_e32 v144, 4, v46
	ds_read_b128 v[46:49], v92 offset:26880
	ds_read_b128 v[50:53], v92 offset:14336
	;; [unrolled: 1-line block ×4, first 2 shown]
	ds_read_b128 v[62:65], v33
	ds_read_b128 v[66:69], v92 offset:1792
	ds_read_b128 v[70:73], v92 offset:3584
	;; [unrolled: 1-line block ×7, first 2 shown]
	v_lshlrev_b32_e32 v31, 4, v14
	v_lshlrev_b32_e32 v13, 4, v13
	s_waitcnt vmcnt(0) lgkmcnt(0)
	s_barrier
	buffer_gl0_inv
	v_add3_u32 v13, 0, v13, v32
	v_mul_f64 v[82:83], v[17:18], v[2:3]
	v_mul_f64 v[106:107], v[15:16], v[2:3]
	;; [unrolled: 1-line block ×18, first 2 shown]
	v_fma_f64 v[15:16], v[15:16], v[0:1], v[82:83]
	v_fma_f64 v[17:18], v[17:18], v[0:1], -v[106:107]
	v_fma_f64 v[19:20], v[19:20], v[0:1], v[108:109]
	v_fma_f64 v[21:22], v[21:22], v[0:1], -v[110:111]
	;; [unrolled: 2-line block ×9, first 2 shown]
	v_lshlrev_b32_e32 v82, 4, v88
	v_add3_u32 v83, 0, v139, v32
	v_add3_u32 v88, 0, v140, v32
	;; [unrolled: 1-line block ×3, first 2 shown]
	v_add_f64 v[0:1], v[62:63], -v[15:16]
	v_add_f64 v[2:3], v[64:65], -v[17:18]
	;; [unrolled: 1-line block ×18, first 2 shown]
	v_add3_u32 v107, 0, v142, v32
	v_add3_u32 v108, 0, v143, v32
	;; [unrolled: 1-line block ×4, first 2 shown]
	v_fma_f64 v[58:59], v[62:63], 2.0, -v[0:1]
	v_fma_f64 v[60:61], v[64:65], 2.0, -v[2:3]
	;; [unrolled: 1-line block ×18, first 2 shown]
	ds_write_b128 v138, v[0:3] offset:64
	ds_write_b128 v138, v[58:61]
	ds_write_b128 v83, v[62:65]
	ds_write_b128 v83, v[15:18] offset:64
	ds_write_b128 v88, v[66:69]
	ds_write_b128 v88, v[19:22] offset:64
	;; [unrolled: 2-line block ×8, first 2 shown]
	s_waitcnt lgkmcnt(0)
	s_barrier
	buffer_gl0_inv
	global_load_dwordx4 v[0:3], v31, s[8:9] offset:96
	v_and_or_b32 v15, 0xf0, v12, v14
	v_and_or_b32 v18, 0x1f0, v4, v14
	;; [unrolled: 1-line block ×5, first 2 shown]
	v_lshlrev_b32_e32 v15, 4, v15
	v_and_or_b32 v31, 0x5f0, v8, v14
	v_and_or_b32 v46, 0x7f0, v9, v14
	;; [unrolled: 1-line block ×4, first 2 shown]
	v_add3_u32 v138, 0, v15, v32
	ds_read_b128 v[14:17], v92 offset:16128
	v_lshlrev_b32_e32 v139, 4, v18
	ds_read_b128 v[18:21], v92 offset:17920
	v_lshlrev_b32_e32 v140, 4, v22
	;; [unrolled: 2-line block ×3, first 2 shown]
	ds_read_b128 v[26:29], v92 offset:21504
	ds_read_b128 v[38:41], v92 offset:23296
	;; [unrolled: 1-line block ×3, first 2 shown]
	v_lshlrev_b32_e32 v144, 4, v46
	ds_read_b128 v[46:49], v92 offset:26880
	ds_read_b128 v[50:53], v92 offset:14336
	;; [unrolled: 1-line block ×4, first 2 shown]
	ds_read_b128 v[62:65], v33
	ds_read_b128 v[66:69], v92 offset:1792
	ds_read_b128 v[70:73], v92 offset:3584
	ds_read_b128 v[74:77], v92 offset:5376
	v_lshlrev_b32_e32 v142, 4, v30
	v_lshlrev_b32_e32 v143, 4, v31
	ds_read_b128 v[78:81], v92 offset:7168
	ds_read_b128 v[94:97], v92 offset:8960
	;; [unrolled: 1-line block ×4, first 2 shown]
	v_and_b32_e32 v13, 15, v84
	s_waitcnt vmcnt(0) lgkmcnt(0)
	s_barrier
	buffer_gl0_inv
	v_lshlrev_b32_e32 v88, 4, v13
	v_and_or_b32 v12, 0xe0, v12, v13
	v_lshlrev_b32_e32 v12, 4, v12
	v_mul_f64 v[30:31], v[16:17], v[2:3]
	v_mul_f64 v[82:83], v[14:15], v[2:3]
	;; [unrolled: 1-line block ×18, first 2 shown]
	v_fma_f64 v[14:15], v[14:15], v[0:1], v[30:31]
	v_fma_f64 v[16:17], v[16:17], v[0:1], -v[82:83]
	v_fma_f64 v[18:19], v[18:19], v[0:1], v[106:107]
	v_fma_f64 v[20:21], v[20:21], v[0:1], -v[108:109]
	;; [unrolled: 2-line block ×9, first 2 shown]
	v_lshlrev_b32_e32 v82, 4, v136
	v_lshlrev_b32_e32 v83, 4, v137
	v_add3_u32 v106, 0, v139, v32
	v_add3_u32 v107, 0, v140, v32
	v_add_f64 v[0:1], v[62:63], -v[14:15]
	v_add_f64 v[2:3], v[64:65], -v[16:17]
	;; [unrolled: 1-line block ×18, first 2 shown]
	v_add3_u32 v30, 0, v141, v32
	v_add3_u32 v31, 0, v142, v32
	;; [unrolled: 1-line block ×4, first 2 shown]
	v_fma_f64 v[58:59], v[62:63], 2.0, -v[0:1]
	v_fma_f64 v[60:61], v[64:65], 2.0, -v[2:3]
	;; [unrolled: 1-line block ×18, first 2 shown]
	v_add3_u32 v82, 0, v82, v32
	v_add3_u32 v83, 0, v83, v32
	ds_write_b128 v138, v[0:3] offset:128
	ds_write_b128 v138, v[58:61]
	ds_write_b128 v106, v[62:65]
	ds_write_b128 v106, v[14:17] offset:128
	ds_write_b128 v107, v[66:69]
	ds_write_b128 v107, v[18:21] offset:128
	;; [unrolled: 2-line block ×8, first 2 shown]
	s_waitcnt lgkmcnt(0)
	s_barrier
	buffer_gl0_inv
	global_load_dwordx4 v[0:3], v88, s[8:9] offset:224
	v_and_or_b32 v14, 0x1e0, v4, v13
	v_and_or_b32 v15, 0x3e0, v5, v13
	;; [unrolled: 1-line block ×4, first 2 shown]
	ds_read_b128 v[4:7], v92 offset:16128
	v_and_or_b32 v24, 0x5e0, v8, v13
	v_and_or_b32 v28, 0x7e0, v9, v13
	;; [unrolled: 1-line block ×4, first 2 shown]
	ds_read_b128 v[8:11], v92 offset:17920
	v_add3_u32 v131, 0, v12, v32
	v_lshlrev_b32_e32 v132, 4, v14
	v_lshlrev_b32_e32 v133, 4, v15
	ds_read_b128 v[12:15], v92 offset:19712
	v_lshlrev_b32_e32 v134, 4, v16
	ds_read_b128 v[16:19], v92 offset:21504
	;; [unrolled: 2-line block ×5, first 2 shown]
	ds_read_b128 v[41:44], v92 offset:14336
	ds_read_b128 v[45:48], v92 offset:28672
	;; [unrolled: 1-line block ×3, first 2 shown]
	ds_read_b128 v[53:56], v33
	ds_read_b128 v[57:60], v92 offset:1792
	ds_read_b128 v[61:64], v92 offset:3584
	ds_read_b128 v[65:68], v92 offset:5376
	ds_read_b128 v[69:72], v92 offset:7168
	ds_read_b128 v[73:76], v92 offset:8960
	ds_read_b128 v[77:80], v92 offset:10752
	ds_read_b128 v[94:97], v92 offset:12544
	v_and_b32_e32 v39, 31, v34
	v_and_b32_e32 v38, 31, v84
	;; [unrolled: 1-line block ×3, first 2 shown]
	s_waitcnt vmcnt(0) lgkmcnt(0)
	s_barrier
	v_lshlrev_b32_e32 v130, 5, v39
	buffer_gl0_inv
	v_mul_f64 v[81:82], v[6:7], v[2:3]
	v_mul_f64 v[98:99], v[4:5], v[2:3]
	;; [unrolled: 1-line block ×18, first 2 shown]
	v_fma_f64 v[4:5], v[4:5], v[0:1], v[81:82]
	v_fma_f64 v[6:7], v[6:7], v[0:1], -v[98:99]
	v_fma_f64 v[8:9], v[8:9], v[0:1], v[100:101]
	v_fma_f64 v[10:11], v[10:11], v[0:1], -v[102:103]
	;; [unrolled: 2-line block ×9, first 2 shown]
	v_lshlrev_b32_e32 v81, 4, v83
	v_lshlrev_b32_e32 v82, 4, v88
	v_add3_u32 v83, 0, v132, v32
	v_add3_u32 v88, 0, v133, v32
	v_add_f64 v[0:1], v[53:54], -v[4:5]
	v_add_f64 v[2:3], v[55:56], -v[6:7]
	;; [unrolled: 1-line block ×18, first 2 shown]
	v_add3_u32 v98, 0, v134, v32
	v_add3_u32 v99, 0, v135, v32
	;; [unrolled: 1-line block ×4, first 2 shown]
	v_fma_f64 v[49:50], v[53:54], 2.0, -v[0:1]
	v_fma_f64 v[51:52], v[55:56], 2.0, -v[2:3]
	;; [unrolled: 1-line block ×18, first 2 shown]
	v_add3_u32 v81, 0, v81, v32
	v_add3_u32 v82, 0, v82, v32
	ds_write_b128 v131, v[0:3] offset:256
	ds_write_b128 v131, v[49:52]
	ds_write_b128 v83, v[53:56]
	ds_write_b128 v83, v[4:7] offset:256
	ds_write_b128 v88, v[57:60]
	ds_write_b128 v88, v[8:11] offset:256
	;; [unrolled: 2-line block ×8, first 2 shown]
	v_lshlrev_b32_e32 v0, 5, v38
	v_lshlrev_b32_e32 v24, 5, v40
	s_waitcnt lgkmcnt(0)
	s_barrier
	buffer_gl0_inv
	s_clause 0x6
	global_load_dwordx4 v[12:15], v130, s[8:9] offset:480
	global_load_dwordx4 v[8:11], v130, s[8:9] offset:496
	;; [unrolled: 1-line block ×6, first 2 shown]
	global_load_dwordx2 v[30:31], v24, s[8:9] offset:504
	v_and_b32_e32 v41, 31, v35
	global_load_dwordx4 v[24:27], v24, s[8:9] offset:488
	v_add_nc_u32_e32 v43, 0xffffffa0, v84
	v_lshrrev_b32_e32 v42, 5, v84
	v_mov_b32_e32 v44, 0xaaab
	v_lshlrev_b32_e32 v28, 5, v41
	v_lshrrev_b32_e32 v47, 5, v93
	v_cndmask_b32_e64 v46, v43, v84, s0
	v_lshrrev_b32_e32 v43, 5, v34
	v_mul_u32_u24_e32 v42, 0x60, v42
	global_load_dwordx2 v[28:29], v28, s[8:9] offset:480
	v_lshrrev_b32_e32 v48, 5, v36
	v_lshrrev_b32_e32 v49, 5, v37
	;; [unrolled: 1-line block ×3, first 2 shown]
	v_mul_u32_u24_sdwa v51, v93, v44 dst_sel:DWORD dst_unused:UNUSED_PAD src0_sel:WORD_0 src1_sel:DWORD
	v_mul_u32_u24_sdwa v52, v34, v44 dst_sel:DWORD dst_unused:UNUSED_PAD src0_sel:WORD_0 src1_sel:DWORD
	v_lshlrev_b32_e32 v88, 1, v46
	v_mul_u32_u24_e32 v57, 0x60, v43
	v_and_b32_e32 v50, 0xff, v35
	v_mul_u32_u24_sdwa v53, v36, v44 dst_sel:DWORD dst_unused:UNUSED_PAD src0_sel:WORD_0 src1_sel:DWORD
	v_or_b32_e32 v55, v42, v38
	v_mul_u32_u24_e32 v47, 0x60, v47
	v_mul_u32_u24_e32 v48, 0x60, v48
	;; [unrolled: 1-line block ×3, first 2 shown]
	v_mul_u32_u24_sdwa v54, v37, v44 dst_sel:DWORD dst_unused:UNUSED_PAD src0_sel:WORD_0 src1_sel:DWORD
	v_mul_u32_u24_e32 v56, 0x60, v45
	v_lshrrev_b32_e32 v45, 22, v51
	v_lshrrev_b32_e32 v44, 22, v52
	v_lshlrev_b64 v[51:52], 4, v[88:89]
	v_or_b32_e32 v39, v57, v39
	v_mul_lo_u16 v50, 0xab, v50
	v_lshrrev_b32_e32 v43, 22, v53
	v_lshlrev_b32_e32 v53, 4, v55
	v_or_b32_e32 v47, v47, v38
	v_or_b32_e32 v48, v48, v38
	;; [unrolled: 1-line block ×3, first 2 shown]
	v_lshlrev_b32_e32 v63, 4, v39
	v_add_co_u32 v39, s0, s8, v51
	v_lshrrev_b32_e32 v42, 22, v54
	v_or_b32_e32 v41, v56, v41
	v_lshrrev_b16 v38, 14, v50
	v_add3_u32 v157, 0, v53, v32
	v_lshlrev_b32_e32 v59, 4, v47
	v_lshlrev_b32_e32 v67, 4, v48
	;; [unrolled: 1-line block ×3, first 2 shown]
	ds_read_b128 v[47:50], v92 offset:16128
	v_add_co_ci_u32_e64 v40, s0, s9, v52, s0
	ds_read_b128 v[51:54], v92 offset:26880
	ds_read_b128 v[55:58], v92 offset:10752
	v_add3_u32 v159, 0, v59, v32
	ds_read_b128 v[59:62], v92 offset:21504
	v_add3_u32 v160, 0, v63, v32
	;; [unrolled: 2-line block ×4, first 2 shown]
	ds_read_b128 v[71:74], v92 offset:12544
	ds_read_b128 v[75:78], v92 offset:17920
	;; [unrolled: 1-line block ×6, first 2 shown]
	ds_read_b128 v[106:109], v33
	ds_read_b128 v[110:113], v92 offset:1792
	v_lshlrev_b32_e32 v41, 4, v41
	v_mul_lo_u16 v88, 0x60, v45
	v_mul_lo_u16 v158, 0x60, v38
	v_mov_b32_e32 v83, 5
	v_mul_lo_u16 v156, 0x60, v44
	v_add3_u32 v41, 0, v41, v32
	v_cmp_lt_u32_e64 s0, 0x5f, v84
	s_waitcnt vmcnt(7) lgkmcnt(12)
	v_mul_f64 v[116:117], v[53:54], v[10:11]
	s_waitcnt vmcnt(6) lgkmcnt(11)
	v_mul_f64 v[118:119], v[57:58], v[6:7]
	v_mul_f64 v[120:121], v[55:56], v[6:7]
	;; [unrolled: 1-line block ×3, first 2 shown]
	s_waitcnt vmcnt(5) lgkmcnt(10)
	v_mul_f64 v[10:11], v[61:62], v[2:3]
	v_mul_f64 v[124:125], v[59:60], v[2:3]
	s_waitcnt vmcnt(4) lgkmcnt(9)
	v_mul_f64 v[126:127], v[65:66], v[18:19]
	v_mul_f64 v[18:19], v[63:64], v[18:19]
	;; [unrolled: 3-line block ×3, first 2 shown]
	v_mul_f64 v[128:129], v[69:70], v[6:7]
	v_mul_f64 v[130:131], v[67:68], v[6:7]
	s_waitcnt lgkmcnt(4)
	v_mul_f64 v[138:139], v[96:97], v[2:3]
	v_mul_f64 v[140:141], v[94:95], v[2:3]
	;; [unrolled: 1-line block ×6, first 2 shown]
	s_waitcnt lgkmcnt(3)
	v_mul_f64 v[142:143], v[100:101], v[2:3]
	v_mul_f64 v[2:3], v[98:99], v[2:3]
	s_waitcnt vmcnt(2) lgkmcnt(2)
	v_mul_f64 v[144:145], v[104:105], v[30:31]
	v_mul_f64 v[30:31], v[102:103], v[30:31]
	s_waitcnt vmcnt(1)
	v_mul_f64 v[146:147], v[81:82], v[24:25]
	v_fma_f64 v[55:56], v[55:56], v[4:5], v[118:119]
	v_mul_f64 v[118:119], v[79:80], v[24:25]
	v_fma_f64 v[57:58], v[57:58], v[4:5], -v[120:121]
	v_fma_f64 v[59:60], v[59:60], v[0:1], v[10:11]
	v_fma_f64 v[61:62], v[61:62], v[0:1], -v[124:125]
	v_fma_f64 v[63:64], v[63:64], v[26:27], v[126:127]
	v_fma_f64 v[18:19], v[65:66], v[26:27], -v[18:19]
	s_waitcnt vmcnt(0)
	v_fma_f64 v[65:66], v[71:72], v[28:29], v[132:133]
	v_fma_f64 v[71:72], v[73:74], v[28:29], -v[134:135]
	v_fma_f64 v[51:52], v[51:52], v[8:9], v[116:117]
	v_fma_f64 v[53:54], v[53:54], v[8:9], -v[122:123]
	;; [unrolled: 2-line block ×5, first 2 shown]
	ds_read_b128 v[10:13], v92 offset:3584
	ds_read_b128 v[22:25], v92 offset:5376
	v_fma_f64 v[75:76], v[75:76], v[4:5], v[136:137]
	v_fma_f64 v[4:5], v[77:78], v[4:5], -v[6:7]
	v_fma_f64 v[77:78], v[98:99], v[0:1], v[142:143]
	v_fma_f64 v[94:95], v[100:101], v[0:1], -v[2:3]
	;; [unrolled: 2-line block ×4, first 2 shown]
	ds_read_b128 v[26:29], v92 offset:7168
	ds_read_b128 v[47:50], v92 offset:8960
	v_add_f64 v[6:7], v[55:56], v[59:60]
	v_add_f64 v[16:17], v[57:58], v[61:62]
	s_waitcnt lgkmcnt(5)
	v_add_f64 v[20:21], v[108:109], v[57:58]
	v_add_f64 v[79:80], v[106:107], v[55:56]
	v_add_f64 v[81:82], v[65:66], v[63:64]
	v_add_f64 v[98:99], v[71:72], v[18:19]
	s_waitcnt lgkmcnt(4)
	v_add_f64 v[102:103], v[110:111], v[65:66]
	v_add_f64 v[100:101], v[112:113], v[71:72]
	;; [unrolled: 5-line block ×3, first 2 shown]
	v_add_f64 v[124:125], v[114:115], v[51:52]
	v_add_f64 v[126:127], v[14:15], v[53:54]
	v_add_f64 v[57:58], v[57:58], -v[61:62]
	v_add_f64 v[134:135], v[75:76], v[77:78]
	v_add_f64 v[136:137], v[4:5], v[94:95]
	v_add_f64 v[144:145], v[75:76], -v[77:78]
	s_waitcnt lgkmcnt(1)
	v_add_f64 v[138:139], v[28:29], v[4:5]
	v_add_f64 v[140:141], v[26:27], v[75:76]
	;; [unrolled: 1-line block ×4, first 2 shown]
	v_add_f64 v[55:56], v[55:56], -v[59:60]
	v_fma_f64 v[106:107], v[6:7], -0.5, v[106:107]
	v_fma_f64 v[108:109], v[16:17], -0.5, v[108:109]
	s_waitcnt lgkmcnt(0)
	v_add_f64 v[148:149], v[49:50], v[2:3]
	v_add_f64 v[71:72], v[71:72], -v[18:19]
	v_add_f64 v[65:66], v[65:66], -v[63:64]
	v_add_f64 v[150:151], v[47:48], v[0:1]
	v_add_f64 v[152:153], v[2:3], -v[30:31]
	v_add_f64 v[154:155], v[0:1], -v[96:97]
	v_add_f64 v[2:3], v[20:21], v[61:62]
	v_add_f64 v[0:1], v[79:80], v[59:60]
	v_fma_f64 v[59:60], v[81:82], -0.5, v[110:111]
	v_fma_f64 v[61:62], v[98:99], -0.5, v[112:113]
	v_add_f64 v[128:129], v[24:25], v[14:15]
	v_add_f64 v[130:131], v[22:23], v[114:115]
	v_add_f64 v[67:68], v[67:68], -v[73:74]
	v_add_f64 v[122:123], v[8:9], -v[69:70]
	;; [unrolled: 1-line block ×3, first 2 shown]
	v_add_f64 v[4:5], v[102:103], v[63:64]
	v_fma_f64 v[63:64], v[104:105], -0.5, v[10:11]
	v_fma_f64 v[79:80], v[116:117], -0.5, v[12:13]
	v_add_f64 v[132:133], v[14:15], -v[53:54]
	v_add_f64 v[114:115], v[114:115], -v[51:52]
	v_add_f64 v[10:11], v[118:119], v[73:74]
	v_add_f64 v[8:9], v[120:121], v[69:70]
	v_fma_f64 v[69:70], v[124:125], -0.5, v[22:23]
	v_fma_f64 v[73:74], v[126:127], -0.5, v[24:25]
	;; [unrolled: 1-line block ×4, first 2 shown]
	v_add_f64 v[6:7], v[100:101], v[18:19]
	v_add_f64 v[18:19], v[138:139], v[94:95]
	v_fma_f64 v[94:95], v[75:76], -0.5, v[47:48]
	v_fma_f64 v[100:101], v[146:147], -0.5, v[49:50]
	v_fma_f64 v[24:25], v[57:58], s[4:5], v[106:107]
	v_fma_f64 v[26:27], v[55:56], s[6:7], v[108:109]
	v_add_f64 v[22:23], v[148:149], v[30:31]
	v_fma_f64 v[28:29], v[57:58], s[6:7], v[106:107]
	v_fma_f64 v[30:31], v[55:56], s[4:5], v[108:109]
	;; [unrolled: 1-line block ×4, first 2 shown]
	v_add_f64 v[14:15], v[128:129], v[53:54]
	v_add_f64 v[12:13], v[130:131], v[51:52]
	v_fma_f64 v[51:52], v[71:72], s[6:7], v[59:60]
	v_fma_f64 v[53:54], v[65:66], s[4:5], v[61:62]
	;; [unrolled: 1-line block ×10, first 2 shown]
	v_add_f64 v[16:17], v[140:141], v[77:78]
	v_fma_f64 v[71:72], v[142:143], s[4:5], v[81:82]
	v_fma_f64 v[73:74], v[144:145], s[6:7], v[98:99]
	;; [unrolled: 1-line block ×4, first 2 shown]
	v_add_f64 v[20:21], v[150:151], v[96:97]
	v_fma_f64 v[79:80], v[152:153], s[4:5], v[94:95]
	v_fma_f64 v[81:82], v[154:155], s[6:7], v[100:101]
	;; [unrolled: 1-line block ×4, first 2 shown]
	s_barrier
	buffer_gl0_inv
	ds_write_b128 v157, v[0:3]
	ds_write_b128 v157, v[24:27] offset:512
	ds_write_b128 v157, v[28:31] offset:1024
	ds_write_b128 v41, v[4:7]
	ds_write_b128 v41, v[47:50] offset:512
	ds_write_b128 v41, v[51:54] offset:1024
	;; [unrolled: 3-line block ×6, first 2 shown]
	s_waitcnt lgkmcnt(0)
	s_barrier
	buffer_gl0_inv
	s_clause 0x1
	global_load_dwordx4 v[0:3], v[39:40], off offset:1504
	global_load_dwordx4 v[4:7], v[39:40], off offset:1520
	v_sub_nc_u16 v98, v35, v158
	v_sub_nc_u16 v59, v93, v88
	v_mul_lo_u16 v12, 0x60, v43
	v_mul_lo_u16 v20, 0x60, v42
	v_sub_nc_u16 v60, v34, v156
	v_lshlrev_b32_sdwa v13, v83, v98 dst_sel:DWORD dst_unused:UNUSED_PAD src0_sel:DWORD src1_sel:BYTE_0
	v_lshlrev_b32_sdwa v21, v83, v59 dst_sel:DWORD dst_unused:UNUSED_PAD src0_sel:DWORD src1_sel:WORD_0
	v_sub_nc_u16 v61, v36, v12
	v_sub_nc_u16 v62, v37, v20
	v_lshlrev_b32_sdwa v28, v83, v60 dst_sel:DWORD dst_unused:UNUSED_PAD src0_sel:DWORD src1_sel:WORD_0
	s_clause 0x3
	global_load_dwordx4 v[8:11], v13, s[8:9] offset:1504
	global_load_dwordx4 v[16:19], v21, s[8:9] offset:1504
	;; [unrolled: 1-line block ×4, first 2 shown]
	v_lshlrev_b32_sdwa v39, v83, v61 dst_sel:DWORD dst_unused:UNUSED_PAD src0_sel:DWORD src1_sel:WORD_0
	s_clause 0x2
	global_load_dwordx4 v[24:27], v28, s[8:9] offset:1504
	global_load_dwordx4 v[28:31], v28, s[8:9] offset:1520
	;; [unrolled: 1-line block ×3, first 2 shown]
	v_lshlrev_b32_sdwa v40, v83, v62 dst_sel:DWORD dst_unused:UNUSED_PAD src0_sel:DWORD src1_sel:WORD_0
	s_clause 0x2
	global_load_dwordx4 v[47:50], v39, s[8:9] offset:1520
	global_load_dwordx4 v[51:54], v40, s[8:9] offset:1504
	;; [unrolled: 1-line block ×3, first 2 shown]
	v_cndmask_b32_e64 v39, 0, 0x1200, s0
	v_lshlrev_b32_e32 v40, 4, v46
	v_mad_u32_u24 v63, 0x1200, v45, 0
	v_and_b32_e32 v45, 0xffff, v38
	v_mov_b32_e32 v46, 4
	v_add_nc_u32_e32 v39, 0, v39
	v_mad_u32_u24 v67, 0x1200, v44, 0
	v_mad_u32_u24 v71, 0x1200, v43, 0
	;; [unrolled: 1-line block ×4, first 2 shown]
	v_add3_u32 v83, v39, v40, v32
	ds_read_b128 v[38:41], v92 offset:10752
	ds_read_b128 v[42:45], v92 offset:21504
	v_lshlrev_b32_sdwa v64, v46, v59 dst_sel:DWORD dst_unused:UNUSED_PAD src0_sel:DWORD src1_sel:WORD_0
	v_lshlrev_b32_sdwa v68, v46, v60 dst_sel:DWORD dst_unused:UNUSED_PAD src0_sel:DWORD src1_sel:WORD_0
	;; [unrolled: 1-line block ×4, first 2 shown]
	ds_read_b128 v[59:62], v92 offset:12544
	v_add3_u32 v149, v63, v64, v32
	ds_read_b128 v[63:66], v92 offset:23296
	v_add3_u32 v150, v67, v68, v32
	;; [unrolled: 2-line block ×3, first 2 shown]
	ds_read_b128 v[71:74], v92 offset:25088
	v_lshlrev_b32_sdwa v148, v46, v98 dst_sel:DWORD dst_unused:UNUSED_PAD src0_sel:DWORD src1_sel:BYTE_0
	v_add3_u32 v152, v75, v76, v32
	ds_read_b128 v[75:78], v92 offset:16128
	ds_read_b128 v[79:82], v92 offset:26880
	;; [unrolled: 1-line block ×6, first 2 shown]
	ds_read_b128 v[110:113], v33
	ds_read_b128 v[114:117], v92 offset:1792
	v_cmp_gt_u32_e64 s0, 64, v84
	v_add3_u32 v32, v88, v148, v32
	s_waitcnt vmcnt(11) lgkmcnt(13)
	v_mul_f64 v[118:119], v[40:41], v[2:3]
	s_waitcnt vmcnt(10) lgkmcnt(12)
	v_mul_f64 v[120:121], v[44:45], v[6:7]
	v_mul_f64 v[2:3], v[38:39], v[2:3]
	;; [unrolled: 1-line block ×3, first 2 shown]
	s_waitcnt vmcnt(9) lgkmcnt(11)
	v_mul_f64 v[122:123], v[61:62], v[10:11]
	v_mul_f64 v[10:11], v[59:60], v[10:11]
	s_waitcnt vmcnt(7) lgkmcnt(10)
	v_mul_f64 v[124:125], v[65:66], v[14:15]
	v_mul_f64 v[14:15], v[63:64], v[14:15]
	s_waitcnt lgkmcnt(9)
	v_mul_f64 v[126:127], v[69:70], v[18:19]
	v_mul_f64 v[18:19], v[67:68], v[18:19]
	s_waitcnt vmcnt(6) lgkmcnt(8)
	v_mul_f64 v[128:129], v[73:74], v[22:23]
	v_mul_f64 v[22:23], v[71:72], v[22:23]
	s_waitcnt vmcnt(5) lgkmcnt(7)
	;; [unrolled: 3-line block ×4, first 2 shown]
	v_mul_f64 v[134:135], v[96:97], v[36:37]
	v_mul_f64 v[36:37], v[94:95], v[36:37]
	v_fma_f64 v[38:39], v[38:39], v[0:1], v[118:119]
	s_waitcnt vmcnt(2) lgkmcnt(3)
	v_mul_f64 v[118:119], v[104:105], v[49:50]
	v_mul_f64 v[49:50], v[102:103], v[49:50]
	s_waitcnt vmcnt(1)
	v_mul_f64 v[136:137], v[100:101], v[53:54]
	v_mul_f64 v[53:54], v[98:99], v[53:54]
	v_fma_f64 v[42:43], v[42:43], v[4:5], v[120:121]
	s_waitcnt vmcnt(0) lgkmcnt(2)
	v_mul_f64 v[120:121], v[108:109], v[57:58]
	v_mul_f64 v[57:58], v[106:107], v[57:58]
	v_fma_f64 v[40:41], v[40:41], v[0:1], -v[2:3]
	v_fma_f64 v[44:45], v[44:45], v[4:5], -v[6:7]
	v_fma_f64 v[59:60], v[59:60], v[8:9], v[122:123]
	v_fma_f64 v[61:62], v[61:62], v[8:9], -v[10:11]
	v_fma_f64 v[63:64], v[63:64], v[12:13], v[124:125]
	;; [unrolled: 2-line block ×6, first 2 shown]
	v_fma_f64 v[28:29], v[81:82], v[28:29], -v[30:31]
	ds_read_b128 v[0:3], v92 offset:3584
	ds_read_b128 v[4:7], v92 offset:5376
	v_fma_f64 v[22:23], v[94:95], v[34:35], v[134:135]
	v_fma_f64 v[24:25], v[96:97], v[34:35], -v[36:37]
	v_fma_f64 v[34:35], v[102:103], v[47:48], v[118:119]
	v_fma_f64 v[36:37], v[104:105], v[47:48], -v[49:50]
	;; [unrolled: 2-line block ×4, first 2 shown]
	v_add_f64 v[50:51], v[38:39], v[42:43]
	v_add_f64 v[52:53], v[40:41], v[44:45]
	s_waitcnt lgkmcnt(3)
	v_add_f64 v[54:55], v[112:113], v[40:41]
	v_add_f64 v[56:57], v[110:111], v[38:39]
	v_add_f64 v[75:76], v[38:39], -v[42:43]
	v_add_f64 v[38:39], v[59:60], v[63:64]
	v_add_f64 v[77:78], v[61:62], v[65:66]
	ds_read_b128 v[8:11], v92 offset:7168
	ds_read_b128 v[12:15], v92 offset:8960
	v_add_f64 v[94:95], v[67:68], v[69:70]
	v_add_f64 v[96:97], v[16:17], v[71:72]
	s_waitcnt lgkmcnt(4)
	v_add_f64 v[79:80], v[116:117], v[61:62]
	v_add_f64 v[81:82], v[114:115], v[59:60]
	s_waitcnt lgkmcnt(3)
	v_add_f64 v[100:101], v[0:1], v[67:68]
	v_add_f64 v[104:105], v[18:19], v[73:74]
	;; [unrolled: 1-line block ×3, first 2 shown]
	v_add_f64 v[40:41], v[40:41], -v[44:45]
	v_add_f64 v[124:125], v[22:23], v[34:35]
	v_add_f64 v[126:127], v[24:25], v[36:37]
	v_add_f64 v[61:62], v[61:62], -v[65:66]
	v_add_f64 v[58:59], v[59:60], -v[63:64]
	v_add_f64 v[136:137], v[26:27], v[46:47]
	v_add_f64 v[138:139], v[30:31], v[48:49]
	v_fma_f64 v[50:51], v[50:51], -0.5, v[110:111]
	v_fma_f64 v[52:53], v[52:53], -0.5, v[112:113]
	v_add_f64 v[98:99], v[2:3], v[16:17]
	v_add_f64 v[102:103], v[16:17], -v[71:72]
	s_waitcnt lgkmcnt(2)
	v_add_f64 v[118:119], v[4:5], v[18:19]
	v_add_f64 v[122:123], v[18:19], -v[73:74]
	s_waitcnt lgkmcnt(0)
	v_add_f64 v[140:141], v[14:15], v[30:31]
	v_add_f64 v[142:143], v[12:13], v[26:27]
	;; [unrolled: 1-line block ×4, first 2 shown]
	v_fma_f64 v[54:55], v[38:39], -0.5, v[114:115]
	v_fma_f64 v[56:57], v[77:78], -0.5, v[116:117]
	v_add_f64 v[67:68], v[67:68], -v[69:70]
	v_fma_f64 v[0:1], v[94:95], -0.5, v[0:1]
	v_fma_f64 v[2:3], v[96:97], -0.5, v[2:3]
	v_add_f64 v[108:109], v[6:7], v[20:21]
	v_add_f64 v[120:121], v[20:21], -v[28:29]
	v_add_f64 v[128:129], v[10:11], v[24:25]
	v_add_f64 v[130:131], v[8:9], v[22:23]
	v_add_f64 v[132:133], v[24:25], -v[36:37]
	v_add_f64 v[134:135], v[22:23], -v[34:35]
	v_add_f64 v[22:23], v[79:80], v[65:66]
	v_add_f64 v[20:21], v[81:82], v[63:64]
	;; [unrolled: 1-line block ×3, first 2 shown]
	v_fma_f64 v[64:65], v[104:105], -0.5, v[4:5]
	v_fma_f64 v[69:70], v[106:107], -0.5, v[6:7]
	;; [unrolled: 1-line block ×4, first 2 shown]
	v_add_f64 v[144:145], v[30:31], -v[48:49]
	v_add_f64 v[146:147], v[26:27], -v[46:47]
	v_fma_f64 v[12:13], v[136:137], -0.5, v[12:13]
	v_fma_f64 v[14:15], v[138:139], -0.5, v[14:15]
	v_fma_f64 v[38:39], v[40:41], s[4:5], v[50:51]
	v_fma_f64 v[42:43], v[40:41], s[6:7], v[50:51]
	v_fma_f64 v[40:41], v[75:76], s[6:7], v[52:53]
	v_fma_f64 v[44:45], v[75:76], s[4:5], v[52:53]
	v_add_f64 v[6:7], v[140:141], v[48:49]
	v_add_f64 v[4:5], v[142:143], v[46:47]
	v_fma_f64 v[46:47], v[61:62], s[4:5], v[54:55]
	v_fma_f64 v[48:49], v[58:59], s[6:7], v[56:57]
	;; [unrolled: 1-line block ×4, first 2 shown]
	v_add_f64 v[26:27], v[98:99], v[71:72]
	v_fma_f64 v[54:55], v[102:103], s[4:5], v[0:1]
	v_fma_f64 v[56:57], v[67:68], s[6:7], v[2:3]
	;; [unrolled: 1-line block ×4, first 2 shown]
	v_add_f64 v[30:31], v[108:109], v[28:29]
	v_add_f64 v[28:29], v[118:119], v[73:74]
	v_fma_f64 v[62:63], v[120:121], s[4:5], v[64:65]
	v_fma_f64 v[66:67], v[120:121], s[6:7], v[64:65]
	;; [unrolled: 1-line block ×4, first 2 shown]
	v_add_f64 v[36:37], v[128:129], v[36:37]
	v_add_f64 v[34:35], v[130:131], v[34:35]
	v_fma_f64 v[70:71], v[132:133], s[4:5], v[8:9]
	v_fma_f64 v[72:73], v[134:135], s[6:7], v[10:11]
	;; [unrolled: 1-line block ×8, first 2 shown]
	s_barrier
	buffer_gl0_inv
	ds_write_b128 v83, v[16:19]
	ds_write_b128 v83, v[38:41] offset:1536
	ds_write_b128 v83, v[42:45] offset:3072
	ds_write_b128 v32, v[20:23]
	ds_write_b128 v32, v[46:49] offset:1536
	ds_write_b128 v32, v[50:53] offset:3072
	;; [unrolled: 3-line block ×6, first 2 shown]
	s_waitcnt lgkmcnt(0)
	s_barrier
	buffer_gl0_inv
	ds_read_b128 v[32:35], v33
	ds_read_b128 v[28:31], v92 offset:1792
	ds_read_b128 v[72:75], v92 offset:4608
	;; [unrolled: 1-line block ×13, first 2 shown]
                                        ; implicit-def: $vgpr26_vgpr27
                                        ; implicit-def: $vgpr22_vgpr23
                                        ; implicit-def: $vgpr18_vgpr19
	s_and_saveexec_b32 s1, s0
	s_cbranch_execz .LBB0_19
; %bb.18:
	ds_read_b128 v[0:3], v92 offset:3584
	ds_read_b128 v[4:7], v92 offset:8192
	;; [unrolled: 1-line block ×7, first 2 shown]
.LBB0_19:
	s_or_b32 exec_lo, exec_lo, s1
	v_mul_u32_u24_e32 v88, 6, v84
	s_mov_b32 s10, 0x37e14327
	s_mov_b32 s6, 0x36b3c0b5
	;; [unrolled: 1-line block ×4, first 2 shown]
	v_lshlrev_b32_e32 v88, 4, v88
	s_mov_b32 s11, 0x3fe948f6
	s_mov_b32 s7, 0x3fac98ee
	;; [unrolled: 1-line block ×4, first 2 shown]
	v_add_co_u32 v88, s1, s8, v88
	v_add_co_ci_u32_e64 v118, null, s9, 0, s1
	s_mov_b32 s14, 0xaaaaaaaa
	v_add_co_u32 v106, s1, 0x1000, v88
	v_add_co_ci_u32_e64 v107, s1, 0, v118, s1
	v_add_co_u32 v114, s1, 0x11e0, v88
	v_add_co_ci_u32_e64 v115, s1, 0, v118, s1
	;; [unrolled: 2-line block ×4, first 2 shown]
	s_clause 0x4
	global_load_dwordx4 v[94:97], v[106:107], off offset:480
	global_load_dwordx4 v[98:101], v[114:115], off offset:16
	;; [unrolled: 1-line block ×5, first 2 shown]
	v_add_co_u32 v138, s1, 0x3be0, v88
	v_add_co_ci_u32_e64 v139, s1, 0, v118, s1
	v_add_co_u32 v126, s1, 0x3c20, v88
	v_add_co_ci_u32_e64 v127, s1, 0, v118, s1
	s_clause 0x6
	global_load_dwordx4 v[114:117], v[114:115], off offset:48
	global_load_dwordx4 v[118:121], v[130:131], off offset:992
	;; [unrolled: 1-line block ×7, first 2 shown]
	s_mov_b32 s16, 0x5476071b
	s_mov_b32 s20, 0xb247c609
	;; [unrolled: 1-line block ×11, first 2 shown]
	v_lshl_add_u32 v85, v91, 4, v85
	s_waitcnt vmcnt(0) lgkmcnt(0)
	s_barrier
	buffer_gl0_inv
	v_mul_f64 v[142:143], v[74:75], v[96:97]
	v_mul_f64 v[96:97], v[72:73], v[96:97]
	;; [unrolled: 1-line block ×23, first 2 shown]
	v_fma_f64 v[72:73], v[72:73], v[94:95], v[142:143]
	v_fma_f64 v[74:75], v[74:75], v[94:95], -v[96:97]
	v_mul_f64 v[94:95], v[40:41], v[140:141]
	v_fma_f64 v[68:69], v[68:69], v[98:99], v[144:145]
	v_fma_f64 v[70:71], v[70:71], v[98:99], -v[100:101]
	v_fma_f64 v[80:81], v[80:81], v[110:111], v[148:149]
	v_fma_f64 v[82:83], v[82:83], v[110:111], -v[112:113]
	;; [unrolled: 2-line block ×4, first 2 shown]
	v_fma_f64 v[48:49], v[48:49], v[118:119], v[154:155]
	v_fma_f64 v[64:65], v[64:65], v[114:115], v[152:153]
	v_fma_f64 v[66:67], v[66:67], v[114:115], -v[116:117]
	v_fma_f64 v[50:51], v[50:51], v[118:119], -v[120:121]
	v_fma_f64 v[56:57], v[56:57], v[126:127], v[158:159]
	v_fma_f64 v[58:59], v[58:59], v[126:127], -v[128:129]
	v_fma_f64 v[44:45], v[44:45], v[122:123], v[156:157]
	;; [unrolled: 2-line block ×5, first 2 shown]
	v_fma_f64 v[42:43], v[42:43], v[138:139], -v[94:95]
	v_add_f64 v[94:95], v[72:73], v[80:81]
	v_add_f64 v[96:97], v[74:75], v[82:83]
	;; [unrolled: 1-line block ×4, first 2 shown]
	v_add_f64 v[72:73], v[72:73], -v[80:81]
	v_add_f64 v[74:75], v[74:75], -v[82:83]
	;; [unrolled: 1-line block ×3, first 2 shown]
	v_add_f64 v[80:81], v[60:61], v[64:65]
	v_add_f64 v[82:83], v[62:63], v[66:67]
	v_add_f64 v[60:61], v[64:65], -v[60:61]
	v_add_f64 v[62:63], v[66:67], -v[62:63]
	v_add_f64 v[64:65], v[48:49], v[56:57]
	v_add_f64 v[66:67], v[50:51], v[58:59]
	v_add_f64 v[48:49], v[48:49], -v[56:57]
	v_add_f64 v[50:51], v[50:51], -v[58:59]
	v_add_f64 v[56:57], v[44:45], v[52:53]
	v_add_f64 v[58:59], v[46:47], v[54:55]
	v_add_f64 v[70:71], v[70:71], -v[78:79]
	v_add_f64 v[44:45], v[44:45], -v[52:53]
	v_add_f64 v[46:47], v[46:47], -v[54:55]
	v_add_f64 v[52:53], v[36:37], v[40:41]
	v_add_f64 v[54:55], v[38:39], v[42:43]
	v_add_f64 v[36:37], v[40:41], -v[36:37]
	v_add_f64 v[38:39], v[42:43], -v[38:39]
	v_add_f64 v[40:41], v[98:99], v[94:95]
	v_add_f64 v[42:43], v[100:101], v[96:97]
	v_add_f64 v[76:77], v[98:99], -v[94:95]
	v_add_f64 v[78:79], v[100:101], -v[96:97]
	v_add_f64 v[94:95], v[94:95], -v[80:81]
	v_add_f64 v[96:97], v[96:97], -v[82:83]
	v_add_f64 v[98:99], v[80:81], -v[98:99]
	v_add_f64 v[100:101], v[82:83], -v[100:101]
	v_add_f64 v[102:103], v[60:61], v[68:69]
	v_add_f64 v[106:107], v[60:61], -v[68:69]
	v_add_f64 v[68:69], v[68:69], -v[72:73]
	;; [unrolled: 1-line block ×3, first 2 shown]
	v_add_f64 v[110:111], v[56:57], v[64:65]
	v_add_f64 v[112:113], v[58:59], v[66:67]
	v_add_f64 v[104:105], v[62:63], v[70:71]
	v_add_f64 v[108:109], v[62:63], -v[70:71]
	v_add_f64 v[70:71], v[70:71], -v[74:75]
	;; [unrolled: 1-line block ×6, first 2 shown]
	v_add_f64 v[40:41], v[80:81], v[40:41]
	v_add_f64 v[42:43], v[82:83], v[42:43]
	v_add_f64 v[56:57], v[52:53], -v[56:57]
	v_add_f64 v[58:59], v[54:55], -v[58:59]
	v_add_f64 v[118:119], v[36:37], v[44:45]
	v_add_f64 v[120:121], v[38:39], v[46:47]
	v_add_f64 v[122:123], v[36:37], -v[44:45]
	v_add_f64 v[124:125], v[38:39], -v[46:47]
	;; [unrolled: 1-line block ×5, first 2 shown]
	v_add_f64 v[72:73], v[102:103], v[72:73]
	v_mul_f64 v[80:81], v[94:95], s[10:11]
	v_add_f64 v[52:53], v[52:53], v[110:111]
	v_add_f64 v[54:55], v[54:55], v[112:113]
	;; [unrolled: 1-line block ×3, first 2 shown]
	v_mul_f64 v[82:83], v[96:97], s[10:11]
	v_mul_f64 v[94:95], v[98:99], s[6:7]
	;; [unrolled: 1-line block ×7, first 2 shown]
	v_add_f64 v[32:33], v[32:33], v[40:41]
	v_add_f64 v[34:35], v[34:35], v[42:43]
	v_add_f64 v[36:37], v[48:49], -v[36:37]
	v_add_f64 v[38:39], v[50:51], -v[38:39]
	v_add_f64 v[48:49], v[118:119], v[48:49]
	v_add_f64 v[50:51], v[120:121], v[50:51]
	v_mul_f64 v[64:65], v[64:65], s[10:11]
	v_mul_f64 v[66:67], v[66:67], s[10:11]
	;; [unrolled: 1-line block ×6, first 2 shown]
	v_add_f64 v[28:29], v[28:29], v[52:53]
	v_add_f64 v[30:31], v[30:31], v[54:55]
	v_mul_f64 v[110:111], v[56:57], s[6:7]
	v_mul_f64 v[112:113], v[58:59], s[6:7]
	v_fma_f64 v[98:99], v[98:99], s[6:7], v[80:81]
	v_fma_f64 v[100:101], v[100:101], s[6:7], v[82:83]
	v_fma_f64 v[94:95], v[76:77], s[16:17], -v[94:95]
	v_fma_f64 v[96:97], v[78:79], s[16:17], -v[96:97]
	;; [unrolled: 1-line block ×4, first 2 shown]
	v_fma_f64 v[80:81], v[60:61], s[20:21], v[102:103]
	v_fma_f64 v[82:83], v[62:63], s[20:21], v[104:105]
	v_fma_f64 v[68:69], v[68:69], s[4:5], -v[102:103]
	v_fma_f64 v[70:71], v[70:71], s[4:5], -v[104:105]
	;; [unrolled: 1-line block ×4, first 2 shown]
	v_fma_f64 v[40:41], v[40:41], s[14:15], v[32:33]
	v_fma_f64 v[42:43], v[42:43], s[14:15], v[34:35]
	;; [unrolled: 1-line block ×8, first 2 shown]
	v_fma_f64 v[36:37], v[36:37], s[24:25], -v[122:123]
	v_fma_f64 v[38:39], v[38:39], s[24:25], -v[124:125]
	v_fma_f64 v[64:65], v[114:115], s[18:19], -v[64:65]
	v_fma_f64 v[66:67], v[116:117], s[18:19], -v[66:67]
	v_fma_f64 v[102:103], v[114:115], s[16:17], -v[110:111]
	v_fma_f64 v[104:105], v[116:117], s[16:17], -v[112:113]
	v_fma_f64 v[44:45], v[44:45], s[4:5], -v[118:119]
	v_fma_f64 v[46:47], v[46:47], s[4:5], -v[120:121]
	v_fma_f64 v[80:81], v[72:73], s[22:23], v[80:81]
	v_fma_f64 v[82:83], v[74:75], s[22:23], v[82:83]
	;; [unrolled: 1-line block ×6, first 2 shown]
	v_add_f64 v[72:73], v[98:99], v[40:41]
	v_add_f64 v[74:75], v[100:101], v[42:43]
	;; [unrolled: 1-line block ×6, first 2 shown]
	v_fma_f64 v[98:99], v[48:49], s[22:23], v[106:107]
	v_fma_f64 v[100:101], v[50:51], s[22:23], v[108:109]
	v_add_f64 v[114:115], v[56:57], v[52:53]
	v_add_f64 v[116:117], v[58:59], v[54:55]
	v_fma_f64 v[110:111], v[48:49], s[22:23], v[36:37]
	v_fma_f64 v[112:113], v[50:51], s[22:23], v[38:39]
	v_add_f64 v[118:119], v[64:65], v[52:53]
	v_add_f64 v[120:121], v[66:67], v[54:55]
	;; [unrolled: 4-line block ×3, first 2 shown]
	v_add_f64 v[36:37], v[82:83], v[72:73]
	v_add_f64 v[38:39], v[74:75], -v[80:81]
	v_add_f64 v[40:41], v[62:63], v[76:77]
	v_add_f64 v[42:43], v[78:79], -v[60:61]
	v_add_f64 v[44:45], v[94:95], -v[70:71]
	v_add_f64 v[46:47], v[68:69], v[96:97]
	v_add_f64 v[48:49], v[70:71], v[94:95]
	v_add_f64 v[50:51], v[96:97], -v[68:69]
	v_add_f64 v[52:53], v[76:77], -v[62:63]
	v_add_f64 v[54:55], v[60:61], v[78:79]
	v_add_f64 v[56:57], v[72:73], -v[82:83]
	v_add_f64 v[58:59], v[80:81], v[74:75]
	v_add_f64 v[60:61], v[100:101], v[114:115]
	v_add_f64 v[62:63], v[116:117], -v[98:99]
	v_add_f64 v[64:65], v[112:113], v[118:119]
	v_add_f64 v[66:67], v[120:121], -v[110:111]
	v_add_f64 v[68:69], v[102:103], -v[108:109]
	v_add_f64 v[70:71], v[106:107], v[104:105]
	v_add_f64 v[72:73], v[108:109], v[102:103]
	v_add_f64 v[74:75], v[104:105], -v[106:107]
	v_add_f64 v[76:77], v[118:119], -v[112:113]
	v_add_f64 v[78:79], v[110:111], v[120:121]
	v_add_f64 v[80:81], v[114:115], -v[100:101]
	v_add_f64 v[82:83], v[98:99], v[116:117]
	ds_write_b128 v92, v[32:35]
	ds_write_b128 v92, v[28:31] offset:1792
	ds_write_b128 v92, v[36:39] offset:4608
	ds_write_b128 v92, v[40:43] offset:9216
	ds_write_b128 v92, v[44:47] offset:13824
	ds_write_b128 v92, v[48:51] offset:18432
	ds_write_b128 v92, v[52:55] offset:23040
	ds_write_b128 v92, v[56:59] offset:27648
	ds_write_b128 v85, v[60:63] offset:6400
	ds_write_b128 v85, v[64:67] offset:11008
	ds_write_b128 v85, v[68:71] offset:15616
	ds_write_b128 v85, v[72:75] offset:20224
	ds_write_b128 v85, v[76:79] offset:24832
	ds_write_b128 v85, v[80:83] offset:29440
	s_and_saveexec_b32 s1, s0
	s_cbranch_execz .LBB0_21
; %bb.20:
	v_subrev_nc_u32_e32 v28, 64, v84
	v_cndmask_b32_e64 v28, v28, v93, s0
	v_mul_i32_i24_e32 v88, 6, v28
	v_lshlrev_b64 v[28:29], 4, v[88:89]
	v_add_co_u32 v30, s0, s8, v28
	v_add_co_ci_u32_e64 v31, s0, s9, v29, s0
	v_add_co_u32 v36, s0, 0x1000, v30
	v_add_co_ci_u32_e64 v37, s0, 0, v31, s0
	;; [unrolled: 2-line block ×4, first 2 shown]
	s_clause 0x5
	global_load_dwordx4 v[28:31], v[28:29], off offset:16
	global_load_dwordx4 v[32:35], v[36:37], off offset:480
	;; [unrolled: 1-line block ×6, first 2 shown]
	s_waitcnt vmcnt(5)
	v_mul_f64 v[52:53], v[24:25], v[30:31]
	s_waitcnt vmcnt(4)
	v_mul_f64 v[54:55], v[4:5], v[34:35]
	;; [unrolled: 2-line block ×4, first 2 shown]
	v_mul_f64 v[34:35], v[6:7], v[34:35]
	v_mul_f64 v[30:31], v[26:27], v[30:31]
	;; [unrolled: 1-line block ×4, first 2 shown]
	s_waitcnt vmcnt(1)
	v_mul_f64 v[60:61], v[18:19], v[46:47]
	s_waitcnt vmcnt(0)
	v_mul_f64 v[62:63], v[14:15], v[50:51]
	v_mul_f64 v[50:51], v[12:13], v[50:51]
	;; [unrolled: 1-line block ×3, first 2 shown]
	v_fma_f64 v[26:27], v[26:27], v[28:29], -v[52:53]
	v_fma_f64 v[6:7], v[6:7], v[32:33], -v[54:55]
	;; [unrolled: 1-line block ×4, first 2 shown]
	v_fma_f64 v[4:5], v[4:5], v[32:33], v[34:35]
	v_fma_f64 v[24:25], v[24:25], v[28:29], v[30:31]
	;; [unrolled: 1-line block ×6, first 2 shown]
	v_fma_f64 v[14:15], v[14:15], v[48:49], -v[50:51]
	v_fma_f64 v[18:19], v[18:19], v[44:45], -v[46:47]
	v_add_f64 v[28:29], v[6:7], v[26:27]
	v_add_f64 v[6:7], v[6:7], -v[26:27]
	v_add_f64 v[30:31], v[10:11], v[22:23]
	v_add_f64 v[10:11], v[10:11], -v[22:23]
	;; [unrolled: 2-line block ×4, first 2 shown]
	v_add_f64 v[36:37], v[16:17], -v[12:13]
	v_add_f64 v[12:13], v[12:13], v[16:17]
	v_add_f64 v[20:21], v[14:15], v[18:19]
	v_add_f64 v[14:15], v[18:19], -v[14:15]
	v_add_f64 v[16:17], v[30:31], v[28:29]
	v_add_f64 v[42:43], v[10:11], -v[6:7]
	v_add_f64 v[18:19], v[34:35], v[32:33]
	v_add_f64 v[38:39], v[8:9], -v[4:5]
	v_add_f64 v[22:23], v[36:37], -v[8:9]
	v_add_f64 v[26:27], v[32:33], -v[12:13]
	;; [unrolled: 1-line block ×5, first 2 shown]
	v_add_f64 v[8:9], v[36:37], v[8:9]
	v_add_f64 v[10:11], v[14:15], v[10:11]
	v_add_f64 v[14:15], v[6:7], -v[14:15]
	v_add_f64 v[28:29], v[30:31], -v[28:29]
	;; [unrolled: 1-line block ×3, first 2 shown]
	v_add_f64 v[16:17], v[20:21], v[16:17]
	v_add_f64 v[20:21], v[20:21], -v[30:31]
	v_mul_f64 v[46:47], v[42:43], s[4:5]
	v_add_f64 v[18:19], v[12:13], v[18:19]
	v_add_f64 v[12:13], v[12:13], -v[34:35]
	v_mul_f64 v[22:23], v[22:23], s[12:13]
	v_mul_f64 v[26:27], v[26:27], s[10:11]
	v_mul_f64 v[24:25], v[24:25], s[10:11]
	v_mul_f64 v[36:37], v[38:39], s[4:5]
	v_mul_f64 v[40:41], v[40:41], s[12:13]
	v_add_f64 v[4:5], v[8:9], v[4:5]
	v_add_f64 v[6:7], v[10:11], v[6:7]
	v_add_f64 v[2:3], v[2:3], v[16:17]
	v_mul_f64 v[30:31], v[20:21], s[6:7]
	v_add_f64 v[0:1], v[0:1], v[18:19]
	v_mul_f64 v[34:35], v[12:13], s[6:7]
	v_fma_f64 v[8:9], v[44:45], s[20:21], v[22:23]
	v_fma_f64 v[12:13], v[12:13], s[6:7], v[26:27]
	;; [unrolled: 1-line block ×3, first 2 shown]
	v_fma_f64 v[20:21], v[44:45], s[24:25], -v[36:37]
	v_fma_f64 v[22:23], v[38:39], s[4:5], -v[22:23]
	;; [unrolled: 1-line block ×5, first 2 shown]
	v_fma_f64 v[16:17], v[16:17], s[14:15], v[2:3]
	v_fma_f64 v[28:29], v[28:29], s[16:17], -v[30:31]
	v_fma_f64 v[30:31], v[14:15], s[20:21], v[40:41]
	v_fma_f64 v[14:15], v[14:15], s[24:25], -v[46:47]
	;; [unrolled: 2-line block ×3, first 2 shown]
	v_fma_f64 v[8:9], v[4:5], s[22:23], v[8:9]
	v_fma_f64 v[20:21], v[4:5], s[22:23], v[20:21]
	;; [unrolled: 1-line block ×4, first 2 shown]
	v_add_f64 v[34:35], v[10:11], v[16:17]
	v_add_f64 v[22:23], v[24:25], v[16:17]
	;; [unrolled: 1-line block ×3, first 2 shown]
	v_fma_f64 v[28:29], v[6:7], s[22:23], v[30:31]
	v_add_f64 v[38:39], v[12:13], v[18:19]
	v_fma_f64 v[30:31], v[6:7], s[22:23], v[14:15]
	v_add_f64 v[40:41], v[26:27], v[18:19]
	v_add_f64 v[12:13], v[32:33], v[18:19]
	v_add_f64 v[26:27], v[34:35], -v[8:9]
	v_add_f64 v[10:11], v[20:21], v[22:23]
	v_add_f64 v[22:23], v[22:23], -v[20:21]
	v_add_f64 v[14:15], v[16:17], -v[4:5]
	v_add_f64 v[24:25], v[28:29], v[38:39]
	v_add_f64 v[18:19], v[4:5], v[16:17]
	;; [unrolled: 1-line block ×3, first 2 shown]
	v_add_f64 v[16:17], v[12:13], -v[36:37]
	v_add_f64 v[12:13], v[36:37], v[12:13]
	v_add_f64 v[6:7], v[8:9], v[34:35]
	v_add_f64 v[8:9], v[40:41], -v[30:31]
	v_add_f64 v[4:5], v[38:39], -v[28:29]
	ds_write_b128 v92, v[0:3] offset:3584
	ds_write_b128 v92, v[24:27] offset:8192
	;; [unrolled: 1-line block ×7, first 2 shown]
.LBB0_21:
	s_or_b32 exec_lo, exec_lo, s1
	s_waitcnt lgkmcnt(0)
	s_barrier
	buffer_gl0_inv
	s_and_saveexec_b32 s0, vcc_lo
	s_cbranch_execz .LBB0_23
; %bb.22:
	v_lshl_add_u32 v30, v84, 4, v90
	v_mov_b32_e32 v85, 0
	v_add_nc_u32_e32 v12, 0x70, v84
	v_add_co_u32 v31, vcc_lo, s2, v86
	ds_read_b128 v[0:3], v30
	v_mov_b32_e32 v13, v85
	ds_read_b128 v[4:7], v30 offset:1792
	ds_read_b128 v[8:11], v30 offset:3584
	v_lshlrev_b64 v[16:17], 4, v[84:85]
	v_add_nc_u32_e32 v14, 0xe0, v84
	v_mov_b32_e32 v15, v85
	v_add_co_ci_u32_e32 v32, vcc_lo, s3, v87, vcc_lo
	v_lshlrev_b64 v[12:13], 4, v[12:13]
	v_add_co_u32 v16, vcc_lo, v31, v16
	v_lshlrev_b64 v[14:15], 4, v[14:15]
	v_add_co_ci_u32_e32 v17, vcc_lo, v32, v17, vcc_lo
	v_add_co_u32 v12, vcc_lo, v31, v12
	v_add_co_ci_u32_e32 v13, vcc_lo, v32, v13, vcc_lo
	v_add_co_u32 v14, vcc_lo, v31, v14
	s_waitcnt lgkmcnt(2)
	global_store_dwordx4 v[16:17], v[0:3], off
	v_add_co_ci_u32_e32 v15, vcc_lo, v32, v15, vcc_lo
	v_add_nc_u32_e32 v16, 0x150, v84
	v_mov_b32_e32 v17, v85
	v_add_nc_u32_e32 v18, 0x1c0, v84
	v_mov_b32_e32 v19, v85
	s_waitcnt lgkmcnt(1)
	global_store_dwordx4 v[12:13], v[4:7], off
	s_waitcnt lgkmcnt(0)
	global_store_dwordx4 v[14:15], v[8:11], off
	v_lshlrev_b64 v[12:13], 4, v[16:17]
	ds_read_b128 v[0:3], v30 offset:5376
	v_add_nc_u32_e32 v16, 0x230, v84
	ds_read_b128 v[4:7], v30 offset:7168
	ds_read_b128 v[8:11], v30 offset:8960
	v_lshlrev_b64 v[14:15], 4, v[18:19]
	v_add_nc_u32_e32 v24, 0x2a0, v84
	v_add_co_u32 v20, vcc_lo, v31, v12
	v_lshlrev_b64 v[16:17], 4, v[16:17]
	v_add_co_ci_u32_e32 v21, vcc_lo, v32, v13, vcc_lo
	v_add_co_u32 v22, vcc_lo, v31, v14
	v_add_co_ci_u32_e32 v23, vcc_lo, v32, v15, vcc_lo
	v_add_co_u32 v26, vcc_lo, v31, v16
	v_mov_b32_e32 v25, v85
	ds_read_b128 v[12:15], v30 offset:10752
	v_add_co_ci_u32_e32 v27, vcc_lo, v32, v17, vcc_lo
	ds_read_b128 v[16:19], v30 offset:12544
	v_add_nc_u32_e32 v28, 0x310, v84
	v_mov_b32_e32 v29, v85
	v_lshlrev_b64 v[24:25], 4, v[24:25]
	s_waitcnt lgkmcnt(4)
	global_store_dwordx4 v[20:21], v[0:3], off
	s_waitcnt lgkmcnt(3)
	global_store_dwordx4 v[22:23], v[4:7], off
	;; [unrolled: 2-line block ×3, first 2 shown]
	v_add_nc_u32_e32 v4, 0x380, v84
	v_mov_b32_e32 v5, v85
	v_lshlrev_b64 v[0:1], 4, v[28:29]
	v_add_nc_u32_e32 v8, 0x3f0, v84
	v_add_co_u32 v2, vcc_lo, v31, v24
	v_add_co_ci_u32_e32 v3, vcc_lo, v32, v25, vcc_lo
	v_add_co_u32 v0, vcc_lo, v31, v0
	v_add_co_ci_u32_e32 v1, vcc_lo, v32, v1, vcc_lo
	v_mov_b32_e32 v9, v85
	s_waitcnt lgkmcnt(1)
	global_store_dwordx4 v[2:3], v[12:15], off
	v_lshlrev_b64 v[12:13], 4, v[4:5]
	s_waitcnt lgkmcnt(0)
	global_store_dwordx4 v[0:1], v[16:19], off
	ds_read_b128 v[0:3], v30 offset:14336
	ds_read_b128 v[4:7], v30 offset:16128
	v_lshlrev_b64 v[14:15], 4, v[8:9]
	ds_read_b128 v[8:11], v30 offset:17920
	v_add_nc_u32_e32 v16, 0x460, v84
	v_mov_b32_e32 v17, v85
	v_add_co_u32 v20, vcc_lo, v31, v12
	v_add_co_ci_u32_e32 v21, vcc_lo, v32, v13, vcc_lo
	v_lshlrev_b64 v[12:13], 4, v[16:17]
	v_add_nc_u32_e32 v16, 0x4d0, v84
	v_add_co_u32 v22, vcc_lo, v31, v14
	v_add_co_ci_u32_e32 v23, vcc_lo, v32, v15, vcc_lo
	v_lshlrev_b64 v[26:27], 4, v[16:17]
	ds_read_b128 v[16:19], v30 offset:21504
	v_add_co_u32 v24, vcc_lo, v31, v12
	v_add_nc_u32_e32 v28, 0x540, v84
	v_add_co_ci_u32_e32 v25, vcc_lo, v32, v13, vcc_lo
	ds_read_b128 v[12:15], v30 offset:19712
	s_waitcnt lgkmcnt(4)
	global_store_dwordx4 v[20:21], v[0:3], off
	s_waitcnt lgkmcnt(3)
	global_store_dwordx4 v[22:23], v[4:7], off
	;; [unrolled: 2-line block ×3, first 2 shown]
	v_lshlrev_b64 v[0:1], 4, v[28:29]
	v_add_co_u32 v2, vcc_lo, v31, v26
	v_add_co_ci_u32_e32 v3, vcc_lo, v32, v27, vcc_lo
	v_add_nc_u32_e32 v4, 0x5b0, v84
	v_mov_b32_e32 v5, v85
	v_add_co_u32 v6, vcc_lo, v31, v0
	v_add_co_ci_u32_e32 v7, vcc_lo, v32, v1, vcc_lo
	v_add_nc_u32_e32 v8, 0x620, v84
	v_mov_b32_e32 v9, v85
	v_lshlrev_b64 v[4:5], 4, v[4:5]
	s_waitcnt lgkmcnt(1)
	global_store_dwordx4 v[6:7], v[16:19], off
	v_add_nc_u32_e32 v24, 0x700, v84
	v_mov_b32_e32 v25, v85
	v_lshlrev_b64 v[6:7], 4, v[8:9]
	s_waitcnt lgkmcnt(0)
	global_store_dwordx4 v[2:3], v[12:15], off
	v_add_co_u32 v20, vcc_lo, v31, v4
	v_add_nc_u32_e32 v12, 0x690, v84
	v_mov_b32_e32 v13, v85
	v_add_co_ci_u32_e32 v21, vcc_lo, v32, v5, vcc_lo
	v_add_co_u32 v22, vcc_lo, v31, v6
	ds_read_b128 v[0:3], v30 offset:23296
	v_add_co_ci_u32_e32 v23, vcc_lo, v32, v7, vcc_lo
	ds_read_b128 v[4:7], v30 offset:25088
	ds_read_b128 v[8:11], v30 offset:26880
	v_lshlrev_b64 v[26:27], 4, v[12:13]
	ds_read_b128 v[12:15], v30 offset:28672
	ds_read_b128 v[16:19], v30 offset:30464
	v_add_nc_u32_e32 v84, 0x770, v84
	v_lshlrev_b64 v[24:25], 4, v[24:25]
	v_add_co_u32 v26, vcc_lo, v31, v26
	v_lshlrev_b64 v[28:29], 4, v[84:85]
	v_add_co_ci_u32_e32 v27, vcc_lo, v32, v27, vcc_lo
	v_add_co_u32 v24, vcc_lo, v31, v24
	v_add_co_ci_u32_e32 v25, vcc_lo, v32, v25, vcc_lo
	v_add_co_u32 v28, vcc_lo, v31, v28
	v_add_co_ci_u32_e32 v29, vcc_lo, v32, v29, vcc_lo
	s_waitcnt lgkmcnt(4)
	global_store_dwordx4 v[20:21], v[0:3], off
	s_waitcnt lgkmcnt(3)
	global_store_dwordx4 v[22:23], v[4:7], off
	;; [unrolled: 2-line block ×5, first 2 shown]
.LBB0_23:
	s_endpgm
	.section	.rodata,"a",@progbits
	.p2align	6, 0x0
	.amdhsa_kernel fft_rtc_back_len2016_factors_2_2_2_2_2_3_3_7_wgs_224_tpt_112_halfLds_dp_ip_CI_unitstride_sbrr_C2R_dirReg
		.amdhsa_group_segment_fixed_size 0
		.amdhsa_private_segment_fixed_size 0
		.amdhsa_kernarg_size 88
		.amdhsa_user_sgpr_count 6
		.amdhsa_user_sgpr_private_segment_buffer 1
		.amdhsa_user_sgpr_dispatch_ptr 0
		.amdhsa_user_sgpr_queue_ptr 0
		.amdhsa_user_sgpr_kernarg_segment_ptr 1
		.amdhsa_user_sgpr_dispatch_id 0
		.amdhsa_user_sgpr_flat_scratch_init 0
		.amdhsa_user_sgpr_private_segment_size 0
		.amdhsa_wavefront_size32 1
		.amdhsa_uses_dynamic_stack 0
		.amdhsa_system_sgpr_private_segment_wavefront_offset 0
		.amdhsa_system_sgpr_workgroup_id_x 1
		.amdhsa_system_sgpr_workgroup_id_y 0
		.amdhsa_system_sgpr_workgroup_id_z 0
		.amdhsa_system_sgpr_workgroup_info 0
		.amdhsa_system_vgpr_workitem_id 0
		.amdhsa_next_free_vgpr 166
		.amdhsa_next_free_sgpr 26
		.amdhsa_reserve_vcc 1
		.amdhsa_reserve_flat_scratch 0
		.amdhsa_float_round_mode_32 0
		.amdhsa_float_round_mode_16_64 0
		.amdhsa_float_denorm_mode_32 3
		.amdhsa_float_denorm_mode_16_64 3
		.amdhsa_dx10_clamp 1
		.amdhsa_ieee_mode 1
		.amdhsa_fp16_overflow 0
		.amdhsa_workgroup_processor_mode 1
		.amdhsa_memory_ordered 1
		.amdhsa_forward_progress 0
		.amdhsa_shared_vgpr_count 0
		.amdhsa_exception_fp_ieee_invalid_op 0
		.amdhsa_exception_fp_denorm_src 0
		.amdhsa_exception_fp_ieee_div_zero 0
		.amdhsa_exception_fp_ieee_overflow 0
		.amdhsa_exception_fp_ieee_underflow 0
		.amdhsa_exception_fp_ieee_inexact 0
		.amdhsa_exception_int_div_zero 0
	.end_amdhsa_kernel
	.text
.Lfunc_end0:
	.size	fft_rtc_back_len2016_factors_2_2_2_2_2_3_3_7_wgs_224_tpt_112_halfLds_dp_ip_CI_unitstride_sbrr_C2R_dirReg, .Lfunc_end0-fft_rtc_back_len2016_factors_2_2_2_2_2_3_3_7_wgs_224_tpt_112_halfLds_dp_ip_CI_unitstride_sbrr_C2R_dirReg
                                        ; -- End function
	.section	.AMDGPU.csdata,"",@progbits
; Kernel info:
; codeLenInByte = 17268
; NumSgprs: 28
; NumVgprs: 166
; ScratchSize: 0
; MemoryBound: 0
; FloatMode: 240
; IeeeMode: 1
; LDSByteSize: 0 bytes/workgroup (compile time only)
; SGPRBlocks: 3
; VGPRBlocks: 20
; NumSGPRsForWavesPerEU: 28
; NumVGPRsForWavesPerEU: 166
; Occupancy: 5
; WaveLimiterHint : 1
; COMPUTE_PGM_RSRC2:SCRATCH_EN: 0
; COMPUTE_PGM_RSRC2:USER_SGPR: 6
; COMPUTE_PGM_RSRC2:TRAP_HANDLER: 0
; COMPUTE_PGM_RSRC2:TGID_X_EN: 1
; COMPUTE_PGM_RSRC2:TGID_Y_EN: 0
; COMPUTE_PGM_RSRC2:TGID_Z_EN: 0
; COMPUTE_PGM_RSRC2:TIDIG_COMP_CNT: 0
	.text
	.p2alignl 6, 3214868480
	.fill 48, 4, 3214868480
	.type	__hip_cuid_5b7001328a8e1bd4,@object ; @__hip_cuid_5b7001328a8e1bd4
	.section	.bss,"aw",@nobits
	.globl	__hip_cuid_5b7001328a8e1bd4
__hip_cuid_5b7001328a8e1bd4:
	.byte	0                               ; 0x0
	.size	__hip_cuid_5b7001328a8e1bd4, 1

	.ident	"AMD clang version 19.0.0git (https://github.com/RadeonOpenCompute/llvm-project roc-6.4.0 25133 c7fe45cf4b819c5991fe208aaa96edf142730f1d)"
	.section	".note.GNU-stack","",@progbits
	.addrsig
	.addrsig_sym __hip_cuid_5b7001328a8e1bd4
	.amdgpu_metadata
---
amdhsa.kernels:
  - .args:
      - .actual_access:  read_only
        .address_space:  global
        .offset:         0
        .size:           8
        .value_kind:     global_buffer
      - .offset:         8
        .size:           8
        .value_kind:     by_value
      - .actual_access:  read_only
        .address_space:  global
        .offset:         16
        .size:           8
        .value_kind:     global_buffer
      - .actual_access:  read_only
        .address_space:  global
        .offset:         24
        .size:           8
        .value_kind:     global_buffer
      - .offset:         32
        .size:           8
        .value_kind:     by_value
      - .actual_access:  read_only
        .address_space:  global
        .offset:         40
        .size:           8
        .value_kind:     global_buffer
      - .actual_access:  read_only
        .address_space:  global
        .offset:         48
        .size:           8
        .value_kind:     global_buffer
      - .offset:         56
        .size:           4
        .value_kind:     by_value
      - .actual_access:  read_only
        .address_space:  global
        .offset:         64
        .size:           8
        .value_kind:     global_buffer
      - .actual_access:  read_only
        .address_space:  global
        .offset:         72
        .size:           8
        .value_kind:     global_buffer
      - .address_space:  global
        .offset:         80
        .size:           8
        .value_kind:     global_buffer
    .group_segment_fixed_size: 0
    .kernarg_segment_align: 8
    .kernarg_segment_size: 88
    .language:       OpenCL C
    .language_version:
      - 2
      - 0
    .max_flat_workgroup_size: 224
    .name:           fft_rtc_back_len2016_factors_2_2_2_2_2_3_3_7_wgs_224_tpt_112_halfLds_dp_ip_CI_unitstride_sbrr_C2R_dirReg
    .private_segment_fixed_size: 0
    .sgpr_count:     28
    .sgpr_spill_count: 0
    .symbol:         fft_rtc_back_len2016_factors_2_2_2_2_2_3_3_7_wgs_224_tpt_112_halfLds_dp_ip_CI_unitstride_sbrr_C2R_dirReg.kd
    .uniform_work_group_size: 1
    .uses_dynamic_stack: false
    .vgpr_count:     166
    .vgpr_spill_count: 0
    .wavefront_size: 32
    .workgroup_processor_mode: 1
amdhsa.target:   amdgcn-amd-amdhsa--gfx1030
amdhsa.version:
  - 1
  - 2
...

	.end_amdgpu_metadata
